;; amdgpu-corpus repo=ROCm/rocThrust kind=compiled arch=gfx90a opt=O3
	.text
	.amdgcn_target "amdgcn-amd-amdhsa--gfx90a"
	.amdhsa_code_object_version 6
	.section	.text._ZN6thrust23THRUST_200600_302600_NS11hip_rocprim14__parallel_for6kernelILj256ENS1_20__uninitialized_fill7functorINS0_10device_ptrIiEEiEEmLj1EEEvT0_T1_SA_,"axG",@progbits,_ZN6thrust23THRUST_200600_302600_NS11hip_rocprim14__parallel_for6kernelILj256ENS1_20__uninitialized_fill7functorINS0_10device_ptrIiEEiEEmLj1EEEvT0_T1_SA_,comdat
	.protected	_ZN6thrust23THRUST_200600_302600_NS11hip_rocprim14__parallel_for6kernelILj256ENS1_20__uninitialized_fill7functorINS0_10device_ptrIiEEiEEmLj1EEEvT0_T1_SA_ ; -- Begin function _ZN6thrust23THRUST_200600_302600_NS11hip_rocprim14__parallel_for6kernelILj256ENS1_20__uninitialized_fill7functorINS0_10device_ptrIiEEiEEmLj1EEEvT0_T1_SA_
	.globl	_ZN6thrust23THRUST_200600_302600_NS11hip_rocprim14__parallel_for6kernelILj256ENS1_20__uninitialized_fill7functorINS0_10device_ptrIiEEiEEmLj1EEEvT0_T1_SA_
	.p2align	8
	.type	_ZN6thrust23THRUST_200600_302600_NS11hip_rocprim14__parallel_for6kernelILj256ENS1_20__uninitialized_fill7functorINS0_10device_ptrIiEEiEEmLj1EEEvT0_T1_SA_,@function
_ZN6thrust23THRUST_200600_302600_NS11hip_rocprim14__parallel_for6kernelILj256ENS1_20__uninitialized_fill7functorINS0_10device_ptrIiEEiEEmLj1EEEvT0_T1_SA_: ; @_ZN6thrust23THRUST_200600_302600_NS11hip_rocprim14__parallel_for6kernelILj256ENS1_20__uninitialized_fill7functorINS0_10device_ptrIiEEiEEmLj1EEEvT0_T1_SA_
; %bb.0:
	s_load_dwordx4 s[8:11], s[4:5], 0x10
	s_lshl_b32 s0, s6, 8
	v_mov_b32_e32 v2, 0x100
	v_mov_b32_e32 v3, 0
	s_waitcnt lgkmcnt(0)
	s_add_u32 s0, s0, s10
	s_addc_u32 s1, 0, s11
	s_sub_u32 s2, s8, s0
	s_subb_u32 s3, s9, s1
	v_cmp_lt_u64_e32 vcc, s[2:3], v[2:3]
	s_cbranch_vccz .LBB0_2
; %bb.1:
	v_cmp_gt_u32_e32 vcc, s2, v0
	s_and_b64 s[2:3], vcc, exec
	s_cbranch_execz .LBB0_3
	s_branch .LBB0_4
.LBB0_2:
	s_mov_b64 s[2:3], 0
.LBB0_3:
	s_or_b64 s[2:3], s[2:3], exec
.LBB0_4:
	s_and_saveexec_b64 s[6:7], s[2:3]
	s_cbranch_execnz .LBB0_6
; %bb.5:
	s_endpgm
.LBB0_6:
	s_load_dwordx2 s[2:3], s[4:5], 0x0
	s_load_dword s6, s[4:5], 0x8
	s_lshl_b64 s[0:1], s[0:1], 2
	v_mov_b32_e32 v1, 0
	v_lshlrev_b64 v[0:1], 2, v[0:1]
	s_waitcnt lgkmcnt(0)
	s_add_u32 s0, s2, s0
	s_addc_u32 s1, s3, s1
	v_mov_b32_e32 v2, s1
	v_add_co_u32_e32 v0, vcc, s0, v0
	v_addc_co_u32_e32 v1, vcc, v2, v1, vcc
	v_mov_b32_e32 v2, s6
	flat_store_dword v[0:1], v2
	s_endpgm
	.section	.rodata,"a",@progbits
	.p2align	6, 0x0
	.amdhsa_kernel _ZN6thrust23THRUST_200600_302600_NS11hip_rocprim14__parallel_for6kernelILj256ENS1_20__uninitialized_fill7functorINS0_10device_ptrIiEEiEEmLj1EEEvT0_T1_SA_
		.amdhsa_group_segment_fixed_size 0
		.amdhsa_private_segment_fixed_size 0
		.amdhsa_kernarg_size 32
		.amdhsa_user_sgpr_count 6
		.amdhsa_user_sgpr_private_segment_buffer 1
		.amdhsa_user_sgpr_dispatch_ptr 0
		.amdhsa_user_sgpr_queue_ptr 0
		.amdhsa_user_sgpr_kernarg_segment_ptr 1
		.amdhsa_user_sgpr_dispatch_id 0
		.amdhsa_user_sgpr_flat_scratch_init 0
		.amdhsa_user_sgpr_kernarg_preload_length 0
		.amdhsa_user_sgpr_kernarg_preload_offset 0
		.amdhsa_user_sgpr_private_segment_size 0
		.amdhsa_uses_dynamic_stack 0
		.amdhsa_system_sgpr_private_segment_wavefront_offset 0
		.amdhsa_system_sgpr_workgroup_id_x 1
		.amdhsa_system_sgpr_workgroup_id_y 0
		.amdhsa_system_sgpr_workgroup_id_z 0
		.amdhsa_system_sgpr_workgroup_info 0
		.amdhsa_system_vgpr_workitem_id 0
		.amdhsa_next_free_vgpr 4
		.amdhsa_next_free_sgpr 12
		.amdhsa_accum_offset 4
		.amdhsa_reserve_vcc 1
		.amdhsa_reserve_flat_scratch 0
		.amdhsa_float_round_mode_32 0
		.amdhsa_float_round_mode_16_64 0
		.amdhsa_float_denorm_mode_32 3
		.amdhsa_float_denorm_mode_16_64 3
		.amdhsa_dx10_clamp 1
		.amdhsa_ieee_mode 1
		.amdhsa_fp16_overflow 0
		.amdhsa_tg_split 0
		.amdhsa_exception_fp_ieee_invalid_op 0
		.amdhsa_exception_fp_denorm_src 0
		.amdhsa_exception_fp_ieee_div_zero 0
		.amdhsa_exception_fp_ieee_overflow 0
		.amdhsa_exception_fp_ieee_underflow 0
		.amdhsa_exception_fp_ieee_inexact 0
		.amdhsa_exception_int_div_zero 0
	.end_amdhsa_kernel
	.section	.text._ZN6thrust23THRUST_200600_302600_NS11hip_rocprim14__parallel_for6kernelILj256ENS1_20__uninitialized_fill7functorINS0_10device_ptrIiEEiEEmLj1EEEvT0_T1_SA_,"axG",@progbits,_ZN6thrust23THRUST_200600_302600_NS11hip_rocprim14__parallel_for6kernelILj256ENS1_20__uninitialized_fill7functorINS0_10device_ptrIiEEiEEmLj1EEEvT0_T1_SA_,comdat
.Lfunc_end0:
	.size	_ZN6thrust23THRUST_200600_302600_NS11hip_rocprim14__parallel_for6kernelILj256ENS1_20__uninitialized_fill7functorINS0_10device_ptrIiEEiEEmLj1EEEvT0_T1_SA_, .Lfunc_end0-_ZN6thrust23THRUST_200600_302600_NS11hip_rocprim14__parallel_for6kernelILj256ENS1_20__uninitialized_fill7functorINS0_10device_ptrIiEEiEEmLj1EEEvT0_T1_SA_
                                        ; -- End function
	.section	.AMDGPU.csdata,"",@progbits
; Kernel info:
; codeLenInByte = 160
; NumSgprs: 16
; NumVgprs: 4
; NumAgprs: 0
; TotalNumVgprs: 4
; ScratchSize: 0
; MemoryBound: 0
; FloatMode: 240
; IeeeMode: 1
; LDSByteSize: 0 bytes/workgroup (compile time only)
; SGPRBlocks: 1
; VGPRBlocks: 0
; NumSGPRsForWavesPerEU: 16
; NumVGPRsForWavesPerEU: 4
; AccumOffset: 4
; Occupancy: 8
; WaveLimiterHint : 0
; COMPUTE_PGM_RSRC2:SCRATCH_EN: 0
; COMPUTE_PGM_RSRC2:USER_SGPR: 6
; COMPUTE_PGM_RSRC2:TRAP_HANDLER: 0
; COMPUTE_PGM_RSRC2:TGID_X_EN: 1
; COMPUTE_PGM_RSRC2:TGID_Y_EN: 0
; COMPUTE_PGM_RSRC2:TGID_Z_EN: 0
; COMPUTE_PGM_RSRC2:TIDIG_COMP_CNT: 0
; COMPUTE_PGM_RSRC3_GFX90A:ACCUM_OFFSET: 0
; COMPUTE_PGM_RSRC3_GFX90A:TG_SPLIT: 0
	.section	.text._ZN7rocprim17ROCPRIM_400000_NS6detail17trampoline_kernelINS0_14default_configENS1_21merge_config_selectorIiNS0_10empty_typeEEEZNS1_10merge_implIS3_N6thrust23THRUST_200600_302600_NS6detail15normal_iteratorINS9_10device_ptrIKiEEEESF_NSB_INSC_IiEEEEPS5_SI_SI_NS9_4lessIiEEEE10hipError_tPvRmT0_T1_T2_T3_T4_T5_mmT6_P12ihipStream_tbEUlT_E_NS1_11comp_targetILNS1_3genE0ELNS1_11target_archE4294967295ELNS1_3gpuE0ELNS1_3repE0EEENS1_30default_config_static_selectorELNS0_4arch9wavefront6targetE1EEEvSP_,"axG",@progbits,_ZN7rocprim17ROCPRIM_400000_NS6detail17trampoline_kernelINS0_14default_configENS1_21merge_config_selectorIiNS0_10empty_typeEEEZNS1_10merge_implIS3_N6thrust23THRUST_200600_302600_NS6detail15normal_iteratorINS9_10device_ptrIKiEEEESF_NSB_INSC_IiEEEEPS5_SI_SI_NS9_4lessIiEEEE10hipError_tPvRmT0_T1_T2_T3_T4_T5_mmT6_P12ihipStream_tbEUlT_E_NS1_11comp_targetILNS1_3genE0ELNS1_11target_archE4294967295ELNS1_3gpuE0ELNS1_3repE0EEENS1_30default_config_static_selectorELNS0_4arch9wavefront6targetE1EEEvSP_,comdat
	.protected	_ZN7rocprim17ROCPRIM_400000_NS6detail17trampoline_kernelINS0_14default_configENS1_21merge_config_selectorIiNS0_10empty_typeEEEZNS1_10merge_implIS3_N6thrust23THRUST_200600_302600_NS6detail15normal_iteratorINS9_10device_ptrIKiEEEESF_NSB_INSC_IiEEEEPS5_SI_SI_NS9_4lessIiEEEE10hipError_tPvRmT0_T1_T2_T3_T4_T5_mmT6_P12ihipStream_tbEUlT_E_NS1_11comp_targetILNS1_3genE0ELNS1_11target_archE4294967295ELNS1_3gpuE0ELNS1_3repE0EEENS1_30default_config_static_selectorELNS0_4arch9wavefront6targetE1EEEvSP_ ; -- Begin function _ZN7rocprim17ROCPRIM_400000_NS6detail17trampoline_kernelINS0_14default_configENS1_21merge_config_selectorIiNS0_10empty_typeEEEZNS1_10merge_implIS3_N6thrust23THRUST_200600_302600_NS6detail15normal_iteratorINS9_10device_ptrIKiEEEESF_NSB_INSC_IiEEEEPS5_SI_SI_NS9_4lessIiEEEE10hipError_tPvRmT0_T1_T2_T3_T4_T5_mmT6_P12ihipStream_tbEUlT_E_NS1_11comp_targetILNS1_3genE0ELNS1_11target_archE4294967295ELNS1_3gpuE0ELNS1_3repE0EEENS1_30default_config_static_selectorELNS0_4arch9wavefront6targetE1EEEvSP_
	.globl	_ZN7rocprim17ROCPRIM_400000_NS6detail17trampoline_kernelINS0_14default_configENS1_21merge_config_selectorIiNS0_10empty_typeEEEZNS1_10merge_implIS3_N6thrust23THRUST_200600_302600_NS6detail15normal_iteratorINS9_10device_ptrIKiEEEESF_NSB_INSC_IiEEEEPS5_SI_SI_NS9_4lessIiEEEE10hipError_tPvRmT0_T1_T2_T3_T4_T5_mmT6_P12ihipStream_tbEUlT_E_NS1_11comp_targetILNS1_3genE0ELNS1_11target_archE4294967295ELNS1_3gpuE0ELNS1_3repE0EEENS1_30default_config_static_selectorELNS0_4arch9wavefront6targetE1EEEvSP_
	.p2align	8
	.type	_ZN7rocprim17ROCPRIM_400000_NS6detail17trampoline_kernelINS0_14default_configENS1_21merge_config_selectorIiNS0_10empty_typeEEEZNS1_10merge_implIS3_N6thrust23THRUST_200600_302600_NS6detail15normal_iteratorINS9_10device_ptrIKiEEEESF_NSB_INSC_IiEEEEPS5_SI_SI_NS9_4lessIiEEEE10hipError_tPvRmT0_T1_T2_T3_T4_T5_mmT6_P12ihipStream_tbEUlT_E_NS1_11comp_targetILNS1_3genE0ELNS1_11target_archE4294967295ELNS1_3gpuE0ELNS1_3repE0EEENS1_30default_config_static_selectorELNS0_4arch9wavefront6targetE1EEEvSP_,@function
_ZN7rocprim17ROCPRIM_400000_NS6detail17trampoline_kernelINS0_14default_configENS1_21merge_config_selectorIiNS0_10empty_typeEEEZNS1_10merge_implIS3_N6thrust23THRUST_200600_302600_NS6detail15normal_iteratorINS9_10device_ptrIKiEEEESF_NSB_INSC_IiEEEEPS5_SI_SI_NS9_4lessIiEEEE10hipError_tPvRmT0_T1_T2_T3_T4_T5_mmT6_P12ihipStream_tbEUlT_E_NS1_11comp_targetILNS1_3genE0ELNS1_11target_archE4294967295ELNS1_3gpuE0ELNS1_3repE0EEENS1_30default_config_static_selectorELNS0_4arch9wavefront6targetE1EEEvSP_: ; @_ZN7rocprim17ROCPRIM_400000_NS6detail17trampoline_kernelINS0_14default_configENS1_21merge_config_selectorIiNS0_10empty_typeEEEZNS1_10merge_implIS3_N6thrust23THRUST_200600_302600_NS6detail15normal_iteratorINS9_10device_ptrIKiEEEESF_NSB_INSC_IiEEEEPS5_SI_SI_NS9_4lessIiEEEE10hipError_tPvRmT0_T1_T2_T3_T4_T5_mmT6_P12ihipStream_tbEUlT_E_NS1_11comp_targetILNS1_3genE0ELNS1_11target_archE4294967295ELNS1_3gpuE0ELNS1_3repE0EEENS1_30default_config_static_selectorELNS0_4arch9wavefront6targetE1EEEvSP_
; %bb.0:
	.section	.rodata,"a",@progbits
	.p2align	6, 0x0
	.amdhsa_kernel _ZN7rocprim17ROCPRIM_400000_NS6detail17trampoline_kernelINS0_14default_configENS1_21merge_config_selectorIiNS0_10empty_typeEEEZNS1_10merge_implIS3_N6thrust23THRUST_200600_302600_NS6detail15normal_iteratorINS9_10device_ptrIKiEEEESF_NSB_INSC_IiEEEEPS5_SI_SI_NS9_4lessIiEEEE10hipError_tPvRmT0_T1_T2_T3_T4_T5_mmT6_P12ihipStream_tbEUlT_E_NS1_11comp_targetILNS1_3genE0ELNS1_11target_archE4294967295ELNS1_3gpuE0ELNS1_3repE0EEENS1_30default_config_static_selectorELNS0_4arch9wavefront6targetE1EEEvSP_
		.amdhsa_group_segment_fixed_size 0
		.amdhsa_private_segment_fixed_size 0
		.amdhsa_kernarg_size 48
		.amdhsa_user_sgpr_count 6
		.amdhsa_user_sgpr_private_segment_buffer 1
		.amdhsa_user_sgpr_dispatch_ptr 0
		.amdhsa_user_sgpr_queue_ptr 0
		.amdhsa_user_sgpr_kernarg_segment_ptr 1
		.amdhsa_user_sgpr_dispatch_id 0
		.amdhsa_user_sgpr_flat_scratch_init 0
		.amdhsa_user_sgpr_kernarg_preload_length 0
		.amdhsa_user_sgpr_kernarg_preload_offset 0
		.amdhsa_user_sgpr_private_segment_size 0
		.amdhsa_uses_dynamic_stack 0
		.amdhsa_system_sgpr_private_segment_wavefront_offset 0
		.amdhsa_system_sgpr_workgroup_id_x 1
		.amdhsa_system_sgpr_workgroup_id_y 0
		.amdhsa_system_sgpr_workgroup_id_z 0
		.amdhsa_system_sgpr_workgroup_info 0
		.amdhsa_system_vgpr_workitem_id 0
		.amdhsa_next_free_vgpr 1
		.amdhsa_next_free_sgpr 0
		.amdhsa_accum_offset 4
		.amdhsa_reserve_vcc 0
		.amdhsa_reserve_flat_scratch 0
		.amdhsa_float_round_mode_32 0
		.amdhsa_float_round_mode_16_64 0
		.amdhsa_float_denorm_mode_32 3
		.amdhsa_float_denorm_mode_16_64 3
		.amdhsa_dx10_clamp 1
		.amdhsa_ieee_mode 1
		.amdhsa_fp16_overflow 0
		.amdhsa_tg_split 0
		.amdhsa_exception_fp_ieee_invalid_op 0
		.amdhsa_exception_fp_denorm_src 0
		.amdhsa_exception_fp_ieee_div_zero 0
		.amdhsa_exception_fp_ieee_overflow 0
		.amdhsa_exception_fp_ieee_underflow 0
		.amdhsa_exception_fp_ieee_inexact 0
		.amdhsa_exception_int_div_zero 0
	.end_amdhsa_kernel
	.section	.text._ZN7rocprim17ROCPRIM_400000_NS6detail17trampoline_kernelINS0_14default_configENS1_21merge_config_selectorIiNS0_10empty_typeEEEZNS1_10merge_implIS3_N6thrust23THRUST_200600_302600_NS6detail15normal_iteratorINS9_10device_ptrIKiEEEESF_NSB_INSC_IiEEEEPS5_SI_SI_NS9_4lessIiEEEE10hipError_tPvRmT0_T1_T2_T3_T4_T5_mmT6_P12ihipStream_tbEUlT_E_NS1_11comp_targetILNS1_3genE0ELNS1_11target_archE4294967295ELNS1_3gpuE0ELNS1_3repE0EEENS1_30default_config_static_selectorELNS0_4arch9wavefront6targetE1EEEvSP_,"axG",@progbits,_ZN7rocprim17ROCPRIM_400000_NS6detail17trampoline_kernelINS0_14default_configENS1_21merge_config_selectorIiNS0_10empty_typeEEEZNS1_10merge_implIS3_N6thrust23THRUST_200600_302600_NS6detail15normal_iteratorINS9_10device_ptrIKiEEEESF_NSB_INSC_IiEEEEPS5_SI_SI_NS9_4lessIiEEEE10hipError_tPvRmT0_T1_T2_T3_T4_T5_mmT6_P12ihipStream_tbEUlT_E_NS1_11comp_targetILNS1_3genE0ELNS1_11target_archE4294967295ELNS1_3gpuE0ELNS1_3repE0EEENS1_30default_config_static_selectorELNS0_4arch9wavefront6targetE1EEEvSP_,comdat
.Lfunc_end1:
	.size	_ZN7rocprim17ROCPRIM_400000_NS6detail17trampoline_kernelINS0_14default_configENS1_21merge_config_selectorIiNS0_10empty_typeEEEZNS1_10merge_implIS3_N6thrust23THRUST_200600_302600_NS6detail15normal_iteratorINS9_10device_ptrIKiEEEESF_NSB_INSC_IiEEEEPS5_SI_SI_NS9_4lessIiEEEE10hipError_tPvRmT0_T1_T2_T3_T4_T5_mmT6_P12ihipStream_tbEUlT_E_NS1_11comp_targetILNS1_3genE0ELNS1_11target_archE4294967295ELNS1_3gpuE0ELNS1_3repE0EEENS1_30default_config_static_selectorELNS0_4arch9wavefront6targetE1EEEvSP_, .Lfunc_end1-_ZN7rocprim17ROCPRIM_400000_NS6detail17trampoline_kernelINS0_14default_configENS1_21merge_config_selectorIiNS0_10empty_typeEEEZNS1_10merge_implIS3_N6thrust23THRUST_200600_302600_NS6detail15normal_iteratorINS9_10device_ptrIKiEEEESF_NSB_INSC_IiEEEEPS5_SI_SI_NS9_4lessIiEEEE10hipError_tPvRmT0_T1_T2_T3_T4_T5_mmT6_P12ihipStream_tbEUlT_E_NS1_11comp_targetILNS1_3genE0ELNS1_11target_archE4294967295ELNS1_3gpuE0ELNS1_3repE0EEENS1_30default_config_static_selectorELNS0_4arch9wavefront6targetE1EEEvSP_
                                        ; -- End function
	.section	.AMDGPU.csdata,"",@progbits
; Kernel info:
; codeLenInByte = 0
; NumSgprs: 4
; NumVgprs: 0
; NumAgprs: 0
; TotalNumVgprs: 0
; ScratchSize: 0
; MemoryBound: 0
; FloatMode: 240
; IeeeMode: 1
; LDSByteSize: 0 bytes/workgroup (compile time only)
; SGPRBlocks: 0
; VGPRBlocks: 0
; NumSGPRsForWavesPerEU: 4
; NumVGPRsForWavesPerEU: 1
; AccumOffset: 4
; Occupancy: 8
; WaveLimiterHint : 0
; COMPUTE_PGM_RSRC2:SCRATCH_EN: 0
; COMPUTE_PGM_RSRC2:USER_SGPR: 6
; COMPUTE_PGM_RSRC2:TRAP_HANDLER: 0
; COMPUTE_PGM_RSRC2:TGID_X_EN: 1
; COMPUTE_PGM_RSRC2:TGID_Y_EN: 0
; COMPUTE_PGM_RSRC2:TGID_Z_EN: 0
; COMPUTE_PGM_RSRC2:TIDIG_COMP_CNT: 0
; COMPUTE_PGM_RSRC3_GFX90A:ACCUM_OFFSET: 0
; COMPUTE_PGM_RSRC3_GFX90A:TG_SPLIT: 0
	.section	.text._ZN7rocprim17ROCPRIM_400000_NS6detail17trampoline_kernelINS0_14default_configENS1_21merge_config_selectorIiNS0_10empty_typeEEEZNS1_10merge_implIS3_N6thrust23THRUST_200600_302600_NS6detail15normal_iteratorINS9_10device_ptrIKiEEEESF_NSB_INSC_IiEEEEPS5_SI_SI_NS9_4lessIiEEEE10hipError_tPvRmT0_T1_T2_T3_T4_T5_mmT6_P12ihipStream_tbEUlT_E_NS1_11comp_targetILNS1_3genE5ELNS1_11target_archE942ELNS1_3gpuE9ELNS1_3repE0EEENS1_30default_config_static_selectorELNS0_4arch9wavefront6targetE1EEEvSP_,"axG",@progbits,_ZN7rocprim17ROCPRIM_400000_NS6detail17trampoline_kernelINS0_14default_configENS1_21merge_config_selectorIiNS0_10empty_typeEEEZNS1_10merge_implIS3_N6thrust23THRUST_200600_302600_NS6detail15normal_iteratorINS9_10device_ptrIKiEEEESF_NSB_INSC_IiEEEEPS5_SI_SI_NS9_4lessIiEEEE10hipError_tPvRmT0_T1_T2_T3_T4_T5_mmT6_P12ihipStream_tbEUlT_E_NS1_11comp_targetILNS1_3genE5ELNS1_11target_archE942ELNS1_3gpuE9ELNS1_3repE0EEENS1_30default_config_static_selectorELNS0_4arch9wavefront6targetE1EEEvSP_,comdat
	.protected	_ZN7rocprim17ROCPRIM_400000_NS6detail17trampoline_kernelINS0_14default_configENS1_21merge_config_selectorIiNS0_10empty_typeEEEZNS1_10merge_implIS3_N6thrust23THRUST_200600_302600_NS6detail15normal_iteratorINS9_10device_ptrIKiEEEESF_NSB_INSC_IiEEEEPS5_SI_SI_NS9_4lessIiEEEE10hipError_tPvRmT0_T1_T2_T3_T4_T5_mmT6_P12ihipStream_tbEUlT_E_NS1_11comp_targetILNS1_3genE5ELNS1_11target_archE942ELNS1_3gpuE9ELNS1_3repE0EEENS1_30default_config_static_selectorELNS0_4arch9wavefront6targetE1EEEvSP_ ; -- Begin function _ZN7rocprim17ROCPRIM_400000_NS6detail17trampoline_kernelINS0_14default_configENS1_21merge_config_selectorIiNS0_10empty_typeEEEZNS1_10merge_implIS3_N6thrust23THRUST_200600_302600_NS6detail15normal_iteratorINS9_10device_ptrIKiEEEESF_NSB_INSC_IiEEEEPS5_SI_SI_NS9_4lessIiEEEE10hipError_tPvRmT0_T1_T2_T3_T4_T5_mmT6_P12ihipStream_tbEUlT_E_NS1_11comp_targetILNS1_3genE5ELNS1_11target_archE942ELNS1_3gpuE9ELNS1_3repE0EEENS1_30default_config_static_selectorELNS0_4arch9wavefront6targetE1EEEvSP_
	.globl	_ZN7rocprim17ROCPRIM_400000_NS6detail17trampoline_kernelINS0_14default_configENS1_21merge_config_selectorIiNS0_10empty_typeEEEZNS1_10merge_implIS3_N6thrust23THRUST_200600_302600_NS6detail15normal_iteratorINS9_10device_ptrIKiEEEESF_NSB_INSC_IiEEEEPS5_SI_SI_NS9_4lessIiEEEE10hipError_tPvRmT0_T1_T2_T3_T4_T5_mmT6_P12ihipStream_tbEUlT_E_NS1_11comp_targetILNS1_3genE5ELNS1_11target_archE942ELNS1_3gpuE9ELNS1_3repE0EEENS1_30default_config_static_selectorELNS0_4arch9wavefront6targetE1EEEvSP_
	.p2align	8
	.type	_ZN7rocprim17ROCPRIM_400000_NS6detail17trampoline_kernelINS0_14default_configENS1_21merge_config_selectorIiNS0_10empty_typeEEEZNS1_10merge_implIS3_N6thrust23THRUST_200600_302600_NS6detail15normal_iteratorINS9_10device_ptrIKiEEEESF_NSB_INSC_IiEEEEPS5_SI_SI_NS9_4lessIiEEEE10hipError_tPvRmT0_T1_T2_T3_T4_T5_mmT6_P12ihipStream_tbEUlT_E_NS1_11comp_targetILNS1_3genE5ELNS1_11target_archE942ELNS1_3gpuE9ELNS1_3repE0EEENS1_30default_config_static_selectorELNS0_4arch9wavefront6targetE1EEEvSP_,@function
_ZN7rocprim17ROCPRIM_400000_NS6detail17trampoline_kernelINS0_14default_configENS1_21merge_config_selectorIiNS0_10empty_typeEEEZNS1_10merge_implIS3_N6thrust23THRUST_200600_302600_NS6detail15normal_iteratorINS9_10device_ptrIKiEEEESF_NSB_INSC_IiEEEEPS5_SI_SI_NS9_4lessIiEEEE10hipError_tPvRmT0_T1_T2_T3_T4_T5_mmT6_P12ihipStream_tbEUlT_E_NS1_11comp_targetILNS1_3genE5ELNS1_11target_archE942ELNS1_3gpuE9ELNS1_3repE0EEENS1_30default_config_static_selectorELNS0_4arch9wavefront6targetE1EEEvSP_: ; @_ZN7rocprim17ROCPRIM_400000_NS6detail17trampoline_kernelINS0_14default_configENS1_21merge_config_selectorIiNS0_10empty_typeEEEZNS1_10merge_implIS3_N6thrust23THRUST_200600_302600_NS6detail15normal_iteratorINS9_10device_ptrIKiEEEESF_NSB_INSC_IiEEEEPS5_SI_SI_NS9_4lessIiEEEE10hipError_tPvRmT0_T1_T2_T3_T4_T5_mmT6_P12ihipStream_tbEUlT_E_NS1_11comp_targetILNS1_3genE5ELNS1_11target_archE942ELNS1_3gpuE9ELNS1_3repE0EEENS1_30default_config_static_selectorELNS0_4arch9wavefront6targetE1EEEvSP_
; %bb.0:
	.section	.rodata,"a",@progbits
	.p2align	6, 0x0
	.amdhsa_kernel _ZN7rocprim17ROCPRIM_400000_NS6detail17trampoline_kernelINS0_14default_configENS1_21merge_config_selectorIiNS0_10empty_typeEEEZNS1_10merge_implIS3_N6thrust23THRUST_200600_302600_NS6detail15normal_iteratorINS9_10device_ptrIKiEEEESF_NSB_INSC_IiEEEEPS5_SI_SI_NS9_4lessIiEEEE10hipError_tPvRmT0_T1_T2_T3_T4_T5_mmT6_P12ihipStream_tbEUlT_E_NS1_11comp_targetILNS1_3genE5ELNS1_11target_archE942ELNS1_3gpuE9ELNS1_3repE0EEENS1_30default_config_static_selectorELNS0_4arch9wavefront6targetE1EEEvSP_
		.amdhsa_group_segment_fixed_size 0
		.amdhsa_private_segment_fixed_size 0
		.amdhsa_kernarg_size 48
		.amdhsa_user_sgpr_count 6
		.amdhsa_user_sgpr_private_segment_buffer 1
		.amdhsa_user_sgpr_dispatch_ptr 0
		.amdhsa_user_sgpr_queue_ptr 0
		.amdhsa_user_sgpr_kernarg_segment_ptr 1
		.amdhsa_user_sgpr_dispatch_id 0
		.amdhsa_user_sgpr_flat_scratch_init 0
		.amdhsa_user_sgpr_kernarg_preload_length 0
		.amdhsa_user_sgpr_kernarg_preload_offset 0
		.amdhsa_user_sgpr_private_segment_size 0
		.amdhsa_uses_dynamic_stack 0
		.amdhsa_system_sgpr_private_segment_wavefront_offset 0
		.amdhsa_system_sgpr_workgroup_id_x 1
		.amdhsa_system_sgpr_workgroup_id_y 0
		.amdhsa_system_sgpr_workgroup_id_z 0
		.amdhsa_system_sgpr_workgroup_info 0
		.amdhsa_system_vgpr_workitem_id 0
		.amdhsa_next_free_vgpr 1
		.amdhsa_next_free_sgpr 0
		.amdhsa_accum_offset 4
		.amdhsa_reserve_vcc 0
		.amdhsa_reserve_flat_scratch 0
		.amdhsa_float_round_mode_32 0
		.amdhsa_float_round_mode_16_64 0
		.amdhsa_float_denorm_mode_32 3
		.amdhsa_float_denorm_mode_16_64 3
		.amdhsa_dx10_clamp 1
		.amdhsa_ieee_mode 1
		.amdhsa_fp16_overflow 0
		.amdhsa_tg_split 0
		.amdhsa_exception_fp_ieee_invalid_op 0
		.amdhsa_exception_fp_denorm_src 0
		.amdhsa_exception_fp_ieee_div_zero 0
		.amdhsa_exception_fp_ieee_overflow 0
		.amdhsa_exception_fp_ieee_underflow 0
		.amdhsa_exception_fp_ieee_inexact 0
		.amdhsa_exception_int_div_zero 0
	.end_amdhsa_kernel
	.section	.text._ZN7rocprim17ROCPRIM_400000_NS6detail17trampoline_kernelINS0_14default_configENS1_21merge_config_selectorIiNS0_10empty_typeEEEZNS1_10merge_implIS3_N6thrust23THRUST_200600_302600_NS6detail15normal_iteratorINS9_10device_ptrIKiEEEESF_NSB_INSC_IiEEEEPS5_SI_SI_NS9_4lessIiEEEE10hipError_tPvRmT0_T1_T2_T3_T4_T5_mmT6_P12ihipStream_tbEUlT_E_NS1_11comp_targetILNS1_3genE5ELNS1_11target_archE942ELNS1_3gpuE9ELNS1_3repE0EEENS1_30default_config_static_selectorELNS0_4arch9wavefront6targetE1EEEvSP_,"axG",@progbits,_ZN7rocprim17ROCPRIM_400000_NS6detail17trampoline_kernelINS0_14default_configENS1_21merge_config_selectorIiNS0_10empty_typeEEEZNS1_10merge_implIS3_N6thrust23THRUST_200600_302600_NS6detail15normal_iteratorINS9_10device_ptrIKiEEEESF_NSB_INSC_IiEEEEPS5_SI_SI_NS9_4lessIiEEEE10hipError_tPvRmT0_T1_T2_T3_T4_T5_mmT6_P12ihipStream_tbEUlT_E_NS1_11comp_targetILNS1_3genE5ELNS1_11target_archE942ELNS1_3gpuE9ELNS1_3repE0EEENS1_30default_config_static_selectorELNS0_4arch9wavefront6targetE1EEEvSP_,comdat
.Lfunc_end2:
	.size	_ZN7rocprim17ROCPRIM_400000_NS6detail17trampoline_kernelINS0_14default_configENS1_21merge_config_selectorIiNS0_10empty_typeEEEZNS1_10merge_implIS3_N6thrust23THRUST_200600_302600_NS6detail15normal_iteratorINS9_10device_ptrIKiEEEESF_NSB_INSC_IiEEEEPS5_SI_SI_NS9_4lessIiEEEE10hipError_tPvRmT0_T1_T2_T3_T4_T5_mmT6_P12ihipStream_tbEUlT_E_NS1_11comp_targetILNS1_3genE5ELNS1_11target_archE942ELNS1_3gpuE9ELNS1_3repE0EEENS1_30default_config_static_selectorELNS0_4arch9wavefront6targetE1EEEvSP_, .Lfunc_end2-_ZN7rocprim17ROCPRIM_400000_NS6detail17trampoline_kernelINS0_14default_configENS1_21merge_config_selectorIiNS0_10empty_typeEEEZNS1_10merge_implIS3_N6thrust23THRUST_200600_302600_NS6detail15normal_iteratorINS9_10device_ptrIKiEEEESF_NSB_INSC_IiEEEEPS5_SI_SI_NS9_4lessIiEEEE10hipError_tPvRmT0_T1_T2_T3_T4_T5_mmT6_P12ihipStream_tbEUlT_E_NS1_11comp_targetILNS1_3genE5ELNS1_11target_archE942ELNS1_3gpuE9ELNS1_3repE0EEENS1_30default_config_static_selectorELNS0_4arch9wavefront6targetE1EEEvSP_
                                        ; -- End function
	.section	.AMDGPU.csdata,"",@progbits
; Kernel info:
; codeLenInByte = 0
; NumSgprs: 4
; NumVgprs: 0
; NumAgprs: 0
; TotalNumVgprs: 0
; ScratchSize: 0
; MemoryBound: 0
; FloatMode: 240
; IeeeMode: 1
; LDSByteSize: 0 bytes/workgroup (compile time only)
; SGPRBlocks: 0
; VGPRBlocks: 0
; NumSGPRsForWavesPerEU: 4
; NumVGPRsForWavesPerEU: 1
; AccumOffset: 4
; Occupancy: 8
; WaveLimiterHint : 0
; COMPUTE_PGM_RSRC2:SCRATCH_EN: 0
; COMPUTE_PGM_RSRC2:USER_SGPR: 6
; COMPUTE_PGM_RSRC2:TRAP_HANDLER: 0
; COMPUTE_PGM_RSRC2:TGID_X_EN: 1
; COMPUTE_PGM_RSRC2:TGID_Y_EN: 0
; COMPUTE_PGM_RSRC2:TGID_Z_EN: 0
; COMPUTE_PGM_RSRC2:TIDIG_COMP_CNT: 0
; COMPUTE_PGM_RSRC3_GFX90A:ACCUM_OFFSET: 0
; COMPUTE_PGM_RSRC3_GFX90A:TG_SPLIT: 0
	.section	.text._ZN7rocprim17ROCPRIM_400000_NS6detail17trampoline_kernelINS0_14default_configENS1_21merge_config_selectorIiNS0_10empty_typeEEEZNS1_10merge_implIS3_N6thrust23THRUST_200600_302600_NS6detail15normal_iteratorINS9_10device_ptrIKiEEEESF_NSB_INSC_IiEEEEPS5_SI_SI_NS9_4lessIiEEEE10hipError_tPvRmT0_T1_T2_T3_T4_T5_mmT6_P12ihipStream_tbEUlT_E_NS1_11comp_targetILNS1_3genE4ELNS1_11target_archE910ELNS1_3gpuE8ELNS1_3repE0EEENS1_30default_config_static_selectorELNS0_4arch9wavefront6targetE1EEEvSP_,"axG",@progbits,_ZN7rocprim17ROCPRIM_400000_NS6detail17trampoline_kernelINS0_14default_configENS1_21merge_config_selectorIiNS0_10empty_typeEEEZNS1_10merge_implIS3_N6thrust23THRUST_200600_302600_NS6detail15normal_iteratorINS9_10device_ptrIKiEEEESF_NSB_INSC_IiEEEEPS5_SI_SI_NS9_4lessIiEEEE10hipError_tPvRmT0_T1_T2_T3_T4_T5_mmT6_P12ihipStream_tbEUlT_E_NS1_11comp_targetILNS1_3genE4ELNS1_11target_archE910ELNS1_3gpuE8ELNS1_3repE0EEENS1_30default_config_static_selectorELNS0_4arch9wavefront6targetE1EEEvSP_,comdat
	.protected	_ZN7rocprim17ROCPRIM_400000_NS6detail17trampoline_kernelINS0_14default_configENS1_21merge_config_selectorIiNS0_10empty_typeEEEZNS1_10merge_implIS3_N6thrust23THRUST_200600_302600_NS6detail15normal_iteratorINS9_10device_ptrIKiEEEESF_NSB_INSC_IiEEEEPS5_SI_SI_NS9_4lessIiEEEE10hipError_tPvRmT0_T1_T2_T3_T4_T5_mmT6_P12ihipStream_tbEUlT_E_NS1_11comp_targetILNS1_3genE4ELNS1_11target_archE910ELNS1_3gpuE8ELNS1_3repE0EEENS1_30default_config_static_selectorELNS0_4arch9wavefront6targetE1EEEvSP_ ; -- Begin function _ZN7rocprim17ROCPRIM_400000_NS6detail17trampoline_kernelINS0_14default_configENS1_21merge_config_selectorIiNS0_10empty_typeEEEZNS1_10merge_implIS3_N6thrust23THRUST_200600_302600_NS6detail15normal_iteratorINS9_10device_ptrIKiEEEESF_NSB_INSC_IiEEEEPS5_SI_SI_NS9_4lessIiEEEE10hipError_tPvRmT0_T1_T2_T3_T4_T5_mmT6_P12ihipStream_tbEUlT_E_NS1_11comp_targetILNS1_3genE4ELNS1_11target_archE910ELNS1_3gpuE8ELNS1_3repE0EEENS1_30default_config_static_selectorELNS0_4arch9wavefront6targetE1EEEvSP_
	.globl	_ZN7rocprim17ROCPRIM_400000_NS6detail17trampoline_kernelINS0_14default_configENS1_21merge_config_selectorIiNS0_10empty_typeEEEZNS1_10merge_implIS3_N6thrust23THRUST_200600_302600_NS6detail15normal_iteratorINS9_10device_ptrIKiEEEESF_NSB_INSC_IiEEEEPS5_SI_SI_NS9_4lessIiEEEE10hipError_tPvRmT0_T1_T2_T3_T4_T5_mmT6_P12ihipStream_tbEUlT_E_NS1_11comp_targetILNS1_3genE4ELNS1_11target_archE910ELNS1_3gpuE8ELNS1_3repE0EEENS1_30default_config_static_selectorELNS0_4arch9wavefront6targetE1EEEvSP_
	.p2align	8
	.type	_ZN7rocprim17ROCPRIM_400000_NS6detail17trampoline_kernelINS0_14default_configENS1_21merge_config_selectorIiNS0_10empty_typeEEEZNS1_10merge_implIS3_N6thrust23THRUST_200600_302600_NS6detail15normal_iteratorINS9_10device_ptrIKiEEEESF_NSB_INSC_IiEEEEPS5_SI_SI_NS9_4lessIiEEEE10hipError_tPvRmT0_T1_T2_T3_T4_T5_mmT6_P12ihipStream_tbEUlT_E_NS1_11comp_targetILNS1_3genE4ELNS1_11target_archE910ELNS1_3gpuE8ELNS1_3repE0EEENS1_30default_config_static_selectorELNS0_4arch9wavefront6targetE1EEEvSP_,@function
_ZN7rocprim17ROCPRIM_400000_NS6detail17trampoline_kernelINS0_14default_configENS1_21merge_config_selectorIiNS0_10empty_typeEEEZNS1_10merge_implIS3_N6thrust23THRUST_200600_302600_NS6detail15normal_iteratorINS9_10device_ptrIKiEEEESF_NSB_INSC_IiEEEEPS5_SI_SI_NS9_4lessIiEEEE10hipError_tPvRmT0_T1_T2_T3_T4_T5_mmT6_P12ihipStream_tbEUlT_E_NS1_11comp_targetILNS1_3genE4ELNS1_11target_archE910ELNS1_3gpuE8ELNS1_3repE0EEENS1_30default_config_static_selectorELNS0_4arch9wavefront6targetE1EEEvSP_: ; @_ZN7rocprim17ROCPRIM_400000_NS6detail17trampoline_kernelINS0_14default_configENS1_21merge_config_selectorIiNS0_10empty_typeEEEZNS1_10merge_implIS3_N6thrust23THRUST_200600_302600_NS6detail15normal_iteratorINS9_10device_ptrIKiEEEESF_NSB_INSC_IiEEEEPS5_SI_SI_NS9_4lessIiEEEE10hipError_tPvRmT0_T1_T2_T3_T4_T5_mmT6_P12ihipStream_tbEUlT_E_NS1_11comp_targetILNS1_3genE4ELNS1_11target_archE910ELNS1_3gpuE8ELNS1_3repE0EEENS1_30default_config_static_selectorELNS0_4arch9wavefront6targetE1EEEvSP_
; %bb.0:
	s_load_dword s7, s[4:5], 0x28
	s_load_dword s0, s[4:5], 0x3c
	s_load_dwordx4 s[8:11], s[4:5], 0x18
	s_waitcnt lgkmcnt(0)
	v_cvt_f32_u32_e32 v1, s7
	s_and_b32 s0, s0, 0xffff
	s_add_u32 s12, s10, s8
	s_addc_u32 s13, s11, s9
	v_rcp_iflag_f32_e32 v1, v1
	s_sub_i32 s1, 0, s7
	s_mul_i32 s6, s6, s0
	s_add_i32 s0, s7, s12
	v_mul_f32_e32 v1, 0x4f7ffffe, v1
	v_cvt_u32_f32_e32 v1, v1
	s_add_i32 s0, s0, -1
	v_add_u32_e32 v0, s6, v0
	v_readfirstlane_b32 s2, v1
	s_mul_i32 s1, s1, s2
	s_mul_hi_u32 s1, s2, s1
	s_add_i32 s2, s2, s1
	s_mul_hi_u32 s1, s0, s2
	s_mul_i32 s2, s1, s7
	s_sub_i32 s0, s0, s2
	s_add_i32 s3, s1, 1
	s_sub_i32 s2, s0, s7
	s_cmp_ge_u32 s0, s7
	s_cselect_b32 s1, s3, s1
	s_cselect_b32 s0, s2, s0
	s_add_i32 s2, s1, 1
	s_cmp_ge_u32 s0, s7
	s_cselect_b32 s0, s2, s1
	v_cmp_ge_u32_e32 vcc, s0, v0
	s_and_saveexec_b64 s[0:1], vcc
	s_cbranch_execz .LBB3_6
; %bb.1:
	v_mul_lo_u32 v2, v0, s7
	v_mov_b32_e32 v3, 0
	v_mov_b32_e32 v1, s13
	v_cmp_gt_u64_e32 vcc, s[12:13], v[2:3]
	v_cndmask_b32_e64 v7, v1, 0, vcc
	v_mov_b32_e32 v1, s12
	v_cndmask_b32_e32 v6, v1, v2, vcc
	v_mov_b32_e32 v1, s11
	v_subrev_co_u32_e32 v2, vcc, s10, v6
	v_subb_co_u32_e32 v3, vcc, v7, v1, vcc
	s_load_dwordx4 s[0:3], s[4:5], 0x0
	v_cmp_gt_u64_e32 vcc, v[2:3], v[6:7]
	v_cndmask_b32_e64 v3, v3, 0, vcc
	v_cndmask_b32_e64 v2, v2, 0, vcc
	v_mov_b32_e32 v1, s9
	v_cmp_gt_u64_e32 vcc, s[8:9], v[6:7]
	v_cndmask_b32_e32 v5, v1, v7, vcc
	v_mov_b32_e32 v1, s8
	v_cndmask_b32_e32 v4, v1, v6, vcc
	v_cmp_lt_u64_e32 vcc, v[2:3], v[4:5]
	s_and_saveexec_b64 s[6:7], vcc
	s_cbranch_execz .LBB3_5
; %bb.2:
	s_load_dwordx2 s[4:5], s[4:5], 0x10
	v_lshlrev_b64 v[6:7], 2, v[6:7]
	s_waitcnt lgkmcnt(0)
	v_mov_b32_e32 v8, s5
	v_add_co_u32_e32 v1, vcc, s4, v6
	v_addc_co_u32_e32 v6, vcc, v8, v7, vcc
	s_mov_b64 s[4:5], 0
	v_mov_b32_e32 v7, s3
.LBB3_3:                                ; =>This Inner Loop Header: Depth=1
	v_add_co_u32_e32 v8, vcc, v4, v2
	v_addc_co_u32_e32 v9, vcc, v5, v3, vcc
	v_lshrrev_b64 v[8:9], 1, v[8:9]
	v_lshlrev_b64 v[12:13], 2, v[8:9]
	v_not_b32_e32 v11, v9
	v_not_b32_e32 v10, v8
	v_add_co_u32_e32 v12, vcc, s2, v12
	v_addc_co_u32_e32 v13, vcc, v7, v13, vcc
	v_lshlrev_b64 v[10:11], 2, v[10:11]
	v_add_co_u32_e32 v10, vcc, v1, v10
	v_addc_co_u32_e32 v11, vcc, v6, v11, vcc
	global_load_dword v12, v[12:13], off
	s_nop 0
	global_load_dword v10, v[10:11], off
	v_add_co_u32_e32 v11, vcc, 1, v8
	v_addc_co_u32_e32 v13, vcc, 0, v9, vcc
	s_waitcnt vmcnt(0)
	v_cmp_lt_i32_e32 vcc, v10, v12
	v_cndmask_b32_e32 v5, v5, v9, vcc
	v_cndmask_b32_e32 v4, v4, v8, vcc
	;; [unrolled: 1-line block ×4, first 2 shown]
	v_cmp_ge_u64_e32 vcc, v[2:3], v[4:5]
	s_or_b64 s[4:5], vcc, s[4:5]
	s_andn2_b64 exec, exec, s[4:5]
	s_cbranch_execnz .LBB3_3
; %bb.4:
	s_or_b64 exec, exec, s[4:5]
.LBB3_5:
	s_or_b64 exec, exec, s[6:7]
	v_mov_b32_e32 v1, 0
	v_lshlrev_b64 v[0:1], 2, v[0:1]
	s_waitcnt lgkmcnt(0)
	v_mov_b32_e32 v3, s1
	v_add_co_u32_e32 v0, vcc, s0, v0
	v_addc_co_u32_e32 v1, vcc, v3, v1, vcc
	global_store_dword v[0:1], v2, off
.LBB3_6:
	s_endpgm
	.section	.rodata,"a",@progbits
	.p2align	6, 0x0
	.amdhsa_kernel _ZN7rocprim17ROCPRIM_400000_NS6detail17trampoline_kernelINS0_14default_configENS1_21merge_config_selectorIiNS0_10empty_typeEEEZNS1_10merge_implIS3_N6thrust23THRUST_200600_302600_NS6detail15normal_iteratorINS9_10device_ptrIKiEEEESF_NSB_INSC_IiEEEEPS5_SI_SI_NS9_4lessIiEEEE10hipError_tPvRmT0_T1_T2_T3_T4_T5_mmT6_P12ihipStream_tbEUlT_E_NS1_11comp_targetILNS1_3genE4ELNS1_11target_archE910ELNS1_3gpuE8ELNS1_3repE0EEENS1_30default_config_static_selectorELNS0_4arch9wavefront6targetE1EEEvSP_
		.amdhsa_group_segment_fixed_size 0
		.amdhsa_private_segment_fixed_size 0
		.amdhsa_kernarg_size 304
		.amdhsa_user_sgpr_count 6
		.amdhsa_user_sgpr_private_segment_buffer 1
		.amdhsa_user_sgpr_dispatch_ptr 0
		.amdhsa_user_sgpr_queue_ptr 0
		.amdhsa_user_sgpr_kernarg_segment_ptr 1
		.amdhsa_user_sgpr_dispatch_id 0
		.amdhsa_user_sgpr_flat_scratch_init 0
		.amdhsa_user_sgpr_kernarg_preload_length 0
		.amdhsa_user_sgpr_kernarg_preload_offset 0
		.amdhsa_user_sgpr_private_segment_size 0
		.amdhsa_uses_dynamic_stack 0
		.amdhsa_system_sgpr_private_segment_wavefront_offset 0
		.amdhsa_system_sgpr_workgroup_id_x 1
		.amdhsa_system_sgpr_workgroup_id_y 0
		.amdhsa_system_sgpr_workgroup_id_z 0
		.amdhsa_system_sgpr_workgroup_info 0
		.amdhsa_system_vgpr_workitem_id 0
		.amdhsa_next_free_vgpr 14
		.amdhsa_next_free_sgpr 14
		.amdhsa_accum_offset 16
		.amdhsa_reserve_vcc 1
		.amdhsa_reserve_flat_scratch 0
		.amdhsa_float_round_mode_32 0
		.amdhsa_float_round_mode_16_64 0
		.amdhsa_float_denorm_mode_32 3
		.amdhsa_float_denorm_mode_16_64 3
		.amdhsa_dx10_clamp 1
		.amdhsa_ieee_mode 1
		.amdhsa_fp16_overflow 0
		.amdhsa_tg_split 0
		.amdhsa_exception_fp_ieee_invalid_op 0
		.amdhsa_exception_fp_denorm_src 0
		.amdhsa_exception_fp_ieee_div_zero 0
		.amdhsa_exception_fp_ieee_overflow 0
		.amdhsa_exception_fp_ieee_underflow 0
		.amdhsa_exception_fp_ieee_inexact 0
		.amdhsa_exception_int_div_zero 0
	.end_amdhsa_kernel
	.section	.text._ZN7rocprim17ROCPRIM_400000_NS6detail17trampoline_kernelINS0_14default_configENS1_21merge_config_selectorIiNS0_10empty_typeEEEZNS1_10merge_implIS3_N6thrust23THRUST_200600_302600_NS6detail15normal_iteratorINS9_10device_ptrIKiEEEESF_NSB_INSC_IiEEEEPS5_SI_SI_NS9_4lessIiEEEE10hipError_tPvRmT0_T1_T2_T3_T4_T5_mmT6_P12ihipStream_tbEUlT_E_NS1_11comp_targetILNS1_3genE4ELNS1_11target_archE910ELNS1_3gpuE8ELNS1_3repE0EEENS1_30default_config_static_selectorELNS0_4arch9wavefront6targetE1EEEvSP_,"axG",@progbits,_ZN7rocprim17ROCPRIM_400000_NS6detail17trampoline_kernelINS0_14default_configENS1_21merge_config_selectorIiNS0_10empty_typeEEEZNS1_10merge_implIS3_N6thrust23THRUST_200600_302600_NS6detail15normal_iteratorINS9_10device_ptrIKiEEEESF_NSB_INSC_IiEEEEPS5_SI_SI_NS9_4lessIiEEEE10hipError_tPvRmT0_T1_T2_T3_T4_T5_mmT6_P12ihipStream_tbEUlT_E_NS1_11comp_targetILNS1_3genE4ELNS1_11target_archE910ELNS1_3gpuE8ELNS1_3repE0EEENS1_30default_config_static_selectorELNS0_4arch9wavefront6targetE1EEEvSP_,comdat
.Lfunc_end3:
	.size	_ZN7rocprim17ROCPRIM_400000_NS6detail17trampoline_kernelINS0_14default_configENS1_21merge_config_selectorIiNS0_10empty_typeEEEZNS1_10merge_implIS3_N6thrust23THRUST_200600_302600_NS6detail15normal_iteratorINS9_10device_ptrIKiEEEESF_NSB_INSC_IiEEEEPS5_SI_SI_NS9_4lessIiEEEE10hipError_tPvRmT0_T1_T2_T3_T4_T5_mmT6_P12ihipStream_tbEUlT_E_NS1_11comp_targetILNS1_3genE4ELNS1_11target_archE910ELNS1_3gpuE8ELNS1_3repE0EEENS1_30default_config_static_selectorELNS0_4arch9wavefront6targetE1EEEvSP_, .Lfunc_end3-_ZN7rocprim17ROCPRIM_400000_NS6detail17trampoline_kernelINS0_14default_configENS1_21merge_config_selectorIiNS0_10empty_typeEEEZNS1_10merge_implIS3_N6thrust23THRUST_200600_302600_NS6detail15normal_iteratorINS9_10device_ptrIKiEEEESF_NSB_INSC_IiEEEEPS5_SI_SI_NS9_4lessIiEEEE10hipError_tPvRmT0_T1_T2_T3_T4_T5_mmT6_P12ihipStream_tbEUlT_E_NS1_11comp_targetILNS1_3genE4ELNS1_11target_archE910ELNS1_3gpuE8ELNS1_3repE0EEENS1_30default_config_static_selectorELNS0_4arch9wavefront6targetE1EEEvSP_
                                        ; -- End function
	.section	.AMDGPU.csdata,"",@progbits
; Kernel info:
; codeLenInByte = 476
; NumSgprs: 18
; NumVgprs: 14
; NumAgprs: 0
; TotalNumVgprs: 14
; ScratchSize: 0
; MemoryBound: 0
; FloatMode: 240
; IeeeMode: 1
; LDSByteSize: 0 bytes/workgroup (compile time only)
; SGPRBlocks: 2
; VGPRBlocks: 1
; NumSGPRsForWavesPerEU: 18
; NumVGPRsForWavesPerEU: 14
; AccumOffset: 16
; Occupancy: 8
; WaveLimiterHint : 0
; COMPUTE_PGM_RSRC2:SCRATCH_EN: 0
; COMPUTE_PGM_RSRC2:USER_SGPR: 6
; COMPUTE_PGM_RSRC2:TRAP_HANDLER: 0
; COMPUTE_PGM_RSRC2:TGID_X_EN: 1
; COMPUTE_PGM_RSRC2:TGID_Y_EN: 0
; COMPUTE_PGM_RSRC2:TGID_Z_EN: 0
; COMPUTE_PGM_RSRC2:TIDIG_COMP_CNT: 0
; COMPUTE_PGM_RSRC3_GFX90A:ACCUM_OFFSET: 3
; COMPUTE_PGM_RSRC3_GFX90A:TG_SPLIT: 0
	.section	.text._ZN7rocprim17ROCPRIM_400000_NS6detail17trampoline_kernelINS0_14default_configENS1_21merge_config_selectorIiNS0_10empty_typeEEEZNS1_10merge_implIS3_N6thrust23THRUST_200600_302600_NS6detail15normal_iteratorINS9_10device_ptrIKiEEEESF_NSB_INSC_IiEEEEPS5_SI_SI_NS9_4lessIiEEEE10hipError_tPvRmT0_T1_T2_T3_T4_T5_mmT6_P12ihipStream_tbEUlT_E_NS1_11comp_targetILNS1_3genE3ELNS1_11target_archE908ELNS1_3gpuE7ELNS1_3repE0EEENS1_30default_config_static_selectorELNS0_4arch9wavefront6targetE1EEEvSP_,"axG",@progbits,_ZN7rocprim17ROCPRIM_400000_NS6detail17trampoline_kernelINS0_14default_configENS1_21merge_config_selectorIiNS0_10empty_typeEEEZNS1_10merge_implIS3_N6thrust23THRUST_200600_302600_NS6detail15normal_iteratorINS9_10device_ptrIKiEEEESF_NSB_INSC_IiEEEEPS5_SI_SI_NS9_4lessIiEEEE10hipError_tPvRmT0_T1_T2_T3_T4_T5_mmT6_P12ihipStream_tbEUlT_E_NS1_11comp_targetILNS1_3genE3ELNS1_11target_archE908ELNS1_3gpuE7ELNS1_3repE0EEENS1_30default_config_static_selectorELNS0_4arch9wavefront6targetE1EEEvSP_,comdat
	.protected	_ZN7rocprim17ROCPRIM_400000_NS6detail17trampoline_kernelINS0_14default_configENS1_21merge_config_selectorIiNS0_10empty_typeEEEZNS1_10merge_implIS3_N6thrust23THRUST_200600_302600_NS6detail15normal_iteratorINS9_10device_ptrIKiEEEESF_NSB_INSC_IiEEEEPS5_SI_SI_NS9_4lessIiEEEE10hipError_tPvRmT0_T1_T2_T3_T4_T5_mmT6_P12ihipStream_tbEUlT_E_NS1_11comp_targetILNS1_3genE3ELNS1_11target_archE908ELNS1_3gpuE7ELNS1_3repE0EEENS1_30default_config_static_selectorELNS0_4arch9wavefront6targetE1EEEvSP_ ; -- Begin function _ZN7rocprim17ROCPRIM_400000_NS6detail17trampoline_kernelINS0_14default_configENS1_21merge_config_selectorIiNS0_10empty_typeEEEZNS1_10merge_implIS3_N6thrust23THRUST_200600_302600_NS6detail15normal_iteratorINS9_10device_ptrIKiEEEESF_NSB_INSC_IiEEEEPS5_SI_SI_NS9_4lessIiEEEE10hipError_tPvRmT0_T1_T2_T3_T4_T5_mmT6_P12ihipStream_tbEUlT_E_NS1_11comp_targetILNS1_3genE3ELNS1_11target_archE908ELNS1_3gpuE7ELNS1_3repE0EEENS1_30default_config_static_selectorELNS0_4arch9wavefront6targetE1EEEvSP_
	.globl	_ZN7rocprim17ROCPRIM_400000_NS6detail17trampoline_kernelINS0_14default_configENS1_21merge_config_selectorIiNS0_10empty_typeEEEZNS1_10merge_implIS3_N6thrust23THRUST_200600_302600_NS6detail15normal_iteratorINS9_10device_ptrIKiEEEESF_NSB_INSC_IiEEEEPS5_SI_SI_NS9_4lessIiEEEE10hipError_tPvRmT0_T1_T2_T3_T4_T5_mmT6_P12ihipStream_tbEUlT_E_NS1_11comp_targetILNS1_3genE3ELNS1_11target_archE908ELNS1_3gpuE7ELNS1_3repE0EEENS1_30default_config_static_selectorELNS0_4arch9wavefront6targetE1EEEvSP_
	.p2align	8
	.type	_ZN7rocprim17ROCPRIM_400000_NS6detail17trampoline_kernelINS0_14default_configENS1_21merge_config_selectorIiNS0_10empty_typeEEEZNS1_10merge_implIS3_N6thrust23THRUST_200600_302600_NS6detail15normal_iteratorINS9_10device_ptrIKiEEEESF_NSB_INSC_IiEEEEPS5_SI_SI_NS9_4lessIiEEEE10hipError_tPvRmT0_T1_T2_T3_T4_T5_mmT6_P12ihipStream_tbEUlT_E_NS1_11comp_targetILNS1_3genE3ELNS1_11target_archE908ELNS1_3gpuE7ELNS1_3repE0EEENS1_30default_config_static_selectorELNS0_4arch9wavefront6targetE1EEEvSP_,@function
_ZN7rocprim17ROCPRIM_400000_NS6detail17trampoline_kernelINS0_14default_configENS1_21merge_config_selectorIiNS0_10empty_typeEEEZNS1_10merge_implIS3_N6thrust23THRUST_200600_302600_NS6detail15normal_iteratorINS9_10device_ptrIKiEEEESF_NSB_INSC_IiEEEEPS5_SI_SI_NS9_4lessIiEEEE10hipError_tPvRmT0_T1_T2_T3_T4_T5_mmT6_P12ihipStream_tbEUlT_E_NS1_11comp_targetILNS1_3genE3ELNS1_11target_archE908ELNS1_3gpuE7ELNS1_3repE0EEENS1_30default_config_static_selectorELNS0_4arch9wavefront6targetE1EEEvSP_: ; @_ZN7rocprim17ROCPRIM_400000_NS6detail17trampoline_kernelINS0_14default_configENS1_21merge_config_selectorIiNS0_10empty_typeEEEZNS1_10merge_implIS3_N6thrust23THRUST_200600_302600_NS6detail15normal_iteratorINS9_10device_ptrIKiEEEESF_NSB_INSC_IiEEEEPS5_SI_SI_NS9_4lessIiEEEE10hipError_tPvRmT0_T1_T2_T3_T4_T5_mmT6_P12ihipStream_tbEUlT_E_NS1_11comp_targetILNS1_3genE3ELNS1_11target_archE908ELNS1_3gpuE7ELNS1_3repE0EEENS1_30default_config_static_selectorELNS0_4arch9wavefront6targetE1EEEvSP_
; %bb.0:
	.section	.rodata,"a",@progbits
	.p2align	6, 0x0
	.amdhsa_kernel _ZN7rocprim17ROCPRIM_400000_NS6detail17trampoline_kernelINS0_14default_configENS1_21merge_config_selectorIiNS0_10empty_typeEEEZNS1_10merge_implIS3_N6thrust23THRUST_200600_302600_NS6detail15normal_iteratorINS9_10device_ptrIKiEEEESF_NSB_INSC_IiEEEEPS5_SI_SI_NS9_4lessIiEEEE10hipError_tPvRmT0_T1_T2_T3_T4_T5_mmT6_P12ihipStream_tbEUlT_E_NS1_11comp_targetILNS1_3genE3ELNS1_11target_archE908ELNS1_3gpuE7ELNS1_3repE0EEENS1_30default_config_static_selectorELNS0_4arch9wavefront6targetE1EEEvSP_
		.amdhsa_group_segment_fixed_size 0
		.amdhsa_private_segment_fixed_size 0
		.amdhsa_kernarg_size 48
		.amdhsa_user_sgpr_count 6
		.amdhsa_user_sgpr_private_segment_buffer 1
		.amdhsa_user_sgpr_dispatch_ptr 0
		.amdhsa_user_sgpr_queue_ptr 0
		.amdhsa_user_sgpr_kernarg_segment_ptr 1
		.amdhsa_user_sgpr_dispatch_id 0
		.amdhsa_user_sgpr_flat_scratch_init 0
		.amdhsa_user_sgpr_kernarg_preload_length 0
		.amdhsa_user_sgpr_kernarg_preload_offset 0
		.amdhsa_user_sgpr_private_segment_size 0
		.amdhsa_uses_dynamic_stack 0
		.amdhsa_system_sgpr_private_segment_wavefront_offset 0
		.amdhsa_system_sgpr_workgroup_id_x 1
		.amdhsa_system_sgpr_workgroup_id_y 0
		.amdhsa_system_sgpr_workgroup_id_z 0
		.amdhsa_system_sgpr_workgroup_info 0
		.amdhsa_system_vgpr_workitem_id 0
		.amdhsa_next_free_vgpr 1
		.amdhsa_next_free_sgpr 0
		.amdhsa_accum_offset 4
		.amdhsa_reserve_vcc 0
		.amdhsa_reserve_flat_scratch 0
		.amdhsa_float_round_mode_32 0
		.amdhsa_float_round_mode_16_64 0
		.amdhsa_float_denorm_mode_32 3
		.amdhsa_float_denorm_mode_16_64 3
		.amdhsa_dx10_clamp 1
		.amdhsa_ieee_mode 1
		.amdhsa_fp16_overflow 0
		.amdhsa_tg_split 0
		.amdhsa_exception_fp_ieee_invalid_op 0
		.amdhsa_exception_fp_denorm_src 0
		.amdhsa_exception_fp_ieee_div_zero 0
		.amdhsa_exception_fp_ieee_overflow 0
		.amdhsa_exception_fp_ieee_underflow 0
		.amdhsa_exception_fp_ieee_inexact 0
		.amdhsa_exception_int_div_zero 0
	.end_amdhsa_kernel
	.section	.text._ZN7rocprim17ROCPRIM_400000_NS6detail17trampoline_kernelINS0_14default_configENS1_21merge_config_selectorIiNS0_10empty_typeEEEZNS1_10merge_implIS3_N6thrust23THRUST_200600_302600_NS6detail15normal_iteratorINS9_10device_ptrIKiEEEESF_NSB_INSC_IiEEEEPS5_SI_SI_NS9_4lessIiEEEE10hipError_tPvRmT0_T1_T2_T3_T4_T5_mmT6_P12ihipStream_tbEUlT_E_NS1_11comp_targetILNS1_3genE3ELNS1_11target_archE908ELNS1_3gpuE7ELNS1_3repE0EEENS1_30default_config_static_selectorELNS0_4arch9wavefront6targetE1EEEvSP_,"axG",@progbits,_ZN7rocprim17ROCPRIM_400000_NS6detail17trampoline_kernelINS0_14default_configENS1_21merge_config_selectorIiNS0_10empty_typeEEEZNS1_10merge_implIS3_N6thrust23THRUST_200600_302600_NS6detail15normal_iteratorINS9_10device_ptrIKiEEEESF_NSB_INSC_IiEEEEPS5_SI_SI_NS9_4lessIiEEEE10hipError_tPvRmT0_T1_T2_T3_T4_T5_mmT6_P12ihipStream_tbEUlT_E_NS1_11comp_targetILNS1_3genE3ELNS1_11target_archE908ELNS1_3gpuE7ELNS1_3repE0EEENS1_30default_config_static_selectorELNS0_4arch9wavefront6targetE1EEEvSP_,comdat
.Lfunc_end4:
	.size	_ZN7rocprim17ROCPRIM_400000_NS6detail17trampoline_kernelINS0_14default_configENS1_21merge_config_selectorIiNS0_10empty_typeEEEZNS1_10merge_implIS3_N6thrust23THRUST_200600_302600_NS6detail15normal_iteratorINS9_10device_ptrIKiEEEESF_NSB_INSC_IiEEEEPS5_SI_SI_NS9_4lessIiEEEE10hipError_tPvRmT0_T1_T2_T3_T4_T5_mmT6_P12ihipStream_tbEUlT_E_NS1_11comp_targetILNS1_3genE3ELNS1_11target_archE908ELNS1_3gpuE7ELNS1_3repE0EEENS1_30default_config_static_selectorELNS0_4arch9wavefront6targetE1EEEvSP_, .Lfunc_end4-_ZN7rocprim17ROCPRIM_400000_NS6detail17trampoline_kernelINS0_14default_configENS1_21merge_config_selectorIiNS0_10empty_typeEEEZNS1_10merge_implIS3_N6thrust23THRUST_200600_302600_NS6detail15normal_iteratorINS9_10device_ptrIKiEEEESF_NSB_INSC_IiEEEEPS5_SI_SI_NS9_4lessIiEEEE10hipError_tPvRmT0_T1_T2_T3_T4_T5_mmT6_P12ihipStream_tbEUlT_E_NS1_11comp_targetILNS1_3genE3ELNS1_11target_archE908ELNS1_3gpuE7ELNS1_3repE0EEENS1_30default_config_static_selectorELNS0_4arch9wavefront6targetE1EEEvSP_
                                        ; -- End function
	.section	.AMDGPU.csdata,"",@progbits
; Kernel info:
; codeLenInByte = 0
; NumSgprs: 4
; NumVgprs: 0
; NumAgprs: 0
; TotalNumVgprs: 0
; ScratchSize: 0
; MemoryBound: 0
; FloatMode: 240
; IeeeMode: 1
; LDSByteSize: 0 bytes/workgroup (compile time only)
; SGPRBlocks: 0
; VGPRBlocks: 0
; NumSGPRsForWavesPerEU: 4
; NumVGPRsForWavesPerEU: 1
; AccumOffset: 4
; Occupancy: 8
; WaveLimiterHint : 0
; COMPUTE_PGM_RSRC2:SCRATCH_EN: 0
; COMPUTE_PGM_RSRC2:USER_SGPR: 6
; COMPUTE_PGM_RSRC2:TRAP_HANDLER: 0
; COMPUTE_PGM_RSRC2:TGID_X_EN: 1
; COMPUTE_PGM_RSRC2:TGID_Y_EN: 0
; COMPUTE_PGM_RSRC2:TGID_Z_EN: 0
; COMPUTE_PGM_RSRC2:TIDIG_COMP_CNT: 0
; COMPUTE_PGM_RSRC3_GFX90A:ACCUM_OFFSET: 0
; COMPUTE_PGM_RSRC3_GFX90A:TG_SPLIT: 0
	.section	.text._ZN7rocprim17ROCPRIM_400000_NS6detail17trampoline_kernelINS0_14default_configENS1_21merge_config_selectorIiNS0_10empty_typeEEEZNS1_10merge_implIS3_N6thrust23THRUST_200600_302600_NS6detail15normal_iteratorINS9_10device_ptrIKiEEEESF_NSB_INSC_IiEEEEPS5_SI_SI_NS9_4lessIiEEEE10hipError_tPvRmT0_T1_T2_T3_T4_T5_mmT6_P12ihipStream_tbEUlT_E_NS1_11comp_targetILNS1_3genE2ELNS1_11target_archE906ELNS1_3gpuE6ELNS1_3repE0EEENS1_30default_config_static_selectorELNS0_4arch9wavefront6targetE1EEEvSP_,"axG",@progbits,_ZN7rocprim17ROCPRIM_400000_NS6detail17trampoline_kernelINS0_14default_configENS1_21merge_config_selectorIiNS0_10empty_typeEEEZNS1_10merge_implIS3_N6thrust23THRUST_200600_302600_NS6detail15normal_iteratorINS9_10device_ptrIKiEEEESF_NSB_INSC_IiEEEEPS5_SI_SI_NS9_4lessIiEEEE10hipError_tPvRmT0_T1_T2_T3_T4_T5_mmT6_P12ihipStream_tbEUlT_E_NS1_11comp_targetILNS1_3genE2ELNS1_11target_archE906ELNS1_3gpuE6ELNS1_3repE0EEENS1_30default_config_static_selectorELNS0_4arch9wavefront6targetE1EEEvSP_,comdat
	.protected	_ZN7rocprim17ROCPRIM_400000_NS6detail17trampoline_kernelINS0_14default_configENS1_21merge_config_selectorIiNS0_10empty_typeEEEZNS1_10merge_implIS3_N6thrust23THRUST_200600_302600_NS6detail15normal_iteratorINS9_10device_ptrIKiEEEESF_NSB_INSC_IiEEEEPS5_SI_SI_NS9_4lessIiEEEE10hipError_tPvRmT0_T1_T2_T3_T4_T5_mmT6_P12ihipStream_tbEUlT_E_NS1_11comp_targetILNS1_3genE2ELNS1_11target_archE906ELNS1_3gpuE6ELNS1_3repE0EEENS1_30default_config_static_selectorELNS0_4arch9wavefront6targetE1EEEvSP_ ; -- Begin function _ZN7rocprim17ROCPRIM_400000_NS6detail17trampoline_kernelINS0_14default_configENS1_21merge_config_selectorIiNS0_10empty_typeEEEZNS1_10merge_implIS3_N6thrust23THRUST_200600_302600_NS6detail15normal_iteratorINS9_10device_ptrIKiEEEESF_NSB_INSC_IiEEEEPS5_SI_SI_NS9_4lessIiEEEE10hipError_tPvRmT0_T1_T2_T3_T4_T5_mmT6_P12ihipStream_tbEUlT_E_NS1_11comp_targetILNS1_3genE2ELNS1_11target_archE906ELNS1_3gpuE6ELNS1_3repE0EEENS1_30default_config_static_selectorELNS0_4arch9wavefront6targetE1EEEvSP_
	.globl	_ZN7rocprim17ROCPRIM_400000_NS6detail17trampoline_kernelINS0_14default_configENS1_21merge_config_selectorIiNS0_10empty_typeEEEZNS1_10merge_implIS3_N6thrust23THRUST_200600_302600_NS6detail15normal_iteratorINS9_10device_ptrIKiEEEESF_NSB_INSC_IiEEEEPS5_SI_SI_NS9_4lessIiEEEE10hipError_tPvRmT0_T1_T2_T3_T4_T5_mmT6_P12ihipStream_tbEUlT_E_NS1_11comp_targetILNS1_3genE2ELNS1_11target_archE906ELNS1_3gpuE6ELNS1_3repE0EEENS1_30default_config_static_selectorELNS0_4arch9wavefront6targetE1EEEvSP_
	.p2align	8
	.type	_ZN7rocprim17ROCPRIM_400000_NS6detail17trampoline_kernelINS0_14default_configENS1_21merge_config_selectorIiNS0_10empty_typeEEEZNS1_10merge_implIS3_N6thrust23THRUST_200600_302600_NS6detail15normal_iteratorINS9_10device_ptrIKiEEEESF_NSB_INSC_IiEEEEPS5_SI_SI_NS9_4lessIiEEEE10hipError_tPvRmT0_T1_T2_T3_T4_T5_mmT6_P12ihipStream_tbEUlT_E_NS1_11comp_targetILNS1_3genE2ELNS1_11target_archE906ELNS1_3gpuE6ELNS1_3repE0EEENS1_30default_config_static_selectorELNS0_4arch9wavefront6targetE1EEEvSP_,@function
_ZN7rocprim17ROCPRIM_400000_NS6detail17trampoline_kernelINS0_14default_configENS1_21merge_config_selectorIiNS0_10empty_typeEEEZNS1_10merge_implIS3_N6thrust23THRUST_200600_302600_NS6detail15normal_iteratorINS9_10device_ptrIKiEEEESF_NSB_INSC_IiEEEEPS5_SI_SI_NS9_4lessIiEEEE10hipError_tPvRmT0_T1_T2_T3_T4_T5_mmT6_P12ihipStream_tbEUlT_E_NS1_11comp_targetILNS1_3genE2ELNS1_11target_archE906ELNS1_3gpuE6ELNS1_3repE0EEENS1_30default_config_static_selectorELNS0_4arch9wavefront6targetE1EEEvSP_: ; @_ZN7rocprim17ROCPRIM_400000_NS6detail17trampoline_kernelINS0_14default_configENS1_21merge_config_selectorIiNS0_10empty_typeEEEZNS1_10merge_implIS3_N6thrust23THRUST_200600_302600_NS6detail15normal_iteratorINS9_10device_ptrIKiEEEESF_NSB_INSC_IiEEEEPS5_SI_SI_NS9_4lessIiEEEE10hipError_tPvRmT0_T1_T2_T3_T4_T5_mmT6_P12ihipStream_tbEUlT_E_NS1_11comp_targetILNS1_3genE2ELNS1_11target_archE906ELNS1_3gpuE6ELNS1_3repE0EEENS1_30default_config_static_selectorELNS0_4arch9wavefront6targetE1EEEvSP_
; %bb.0:
	.section	.rodata,"a",@progbits
	.p2align	6, 0x0
	.amdhsa_kernel _ZN7rocprim17ROCPRIM_400000_NS6detail17trampoline_kernelINS0_14default_configENS1_21merge_config_selectorIiNS0_10empty_typeEEEZNS1_10merge_implIS3_N6thrust23THRUST_200600_302600_NS6detail15normal_iteratorINS9_10device_ptrIKiEEEESF_NSB_INSC_IiEEEEPS5_SI_SI_NS9_4lessIiEEEE10hipError_tPvRmT0_T1_T2_T3_T4_T5_mmT6_P12ihipStream_tbEUlT_E_NS1_11comp_targetILNS1_3genE2ELNS1_11target_archE906ELNS1_3gpuE6ELNS1_3repE0EEENS1_30default_config_static_selectorELNS0_4arch9wavefront6targetE1EEEvSP_
		.amdhsa_group_segment_fixed_size 0
		.amdhsa_private_segment_fixed_size 0
		.amdhsa_kernarg_size 48
		.amdhsa_user_sgpr_count 6
		.amdhsa_user_sgpr_private_segment_buffer 1
		.amdhsa_user_sgpr_dispatch_ptr 0
		.amdhsa_user_sgpr_queue_ptr 0
		.amdhsa_user_sgpr_kernarg_segment_ptr 1
		.amdhsa_user_sgpr_dispatch_id 0
		.amdhsa_user_sgpr_flat_scratch_init 0
		.amdhsa_user_sgpr_kernarg_preload_length 0
		.amdhsa_user_sgpr_kernarg_preload_offset 0
		.amdhsa_user_sgpr_private_segment_size 0
		.amdhsa_uses_dynamic_stack 0
		.amdhsa_system_sgpr_private_segment_wavefront_offset 0
		.amdhsa_system_sgpr_workgroup_id_x 1
		.amdhsa_system_sgpr_workgroup_id_y 0
		.amdhsa_system_sgpr_workgroup_id_z 0
		.amdhsa_system_sgpr_workgroup_info 0
		.amdhsa_system_vgpr_workitem_id 0
		.amdhsa_next_free_vgpr 1
		.amdhsa_next_free_sgpr 0
		.amdhsa_accum_offset 4
		.amdhsa_reserve_vcc 0
		.amdhsa_reserve_flat_scratch 0
		.amdhsa_float_round_mode_32 0
		.amdhsa_float_round_mode_16_64 0
		.amdhsa_float_denorm_mode_32 3
		.amdhsa_float_denorm_mode_16_64 3
		.amdhsa_dx10_clamp 1
		.amdhsa_ieee_mode 1
		.amdhsa_fp16_overflow 0
		.amdhsa_tg_split 0
		.amdhsa_exception_fp_ieee_invalid_op 0
		.amdhsa_exception_fp_denorm_src 0
		.amdhsa_exception_fp_ieee_div_zero 0
		.amdhsa_exception_fp_ieee_overflow 0
		.amdhsa_exception_fp_ieee_underflow 0
		.amdhsa_exception_fp_ieee_inexact 0
		.amdhsa_exception_int_div_zero 0
	.end_amdhsa_kernel
	.section	.text._ZN7rocprim17ROCPRIM_400000_NS6detail17trampoline_kernelINS0_14default_configENS1_21merge_config_selectorIiNS0_10empty_typeEEEZNS1_10merge_implIS3_N6thrust23THRUST_200600_302600_NS6detail15normal_iteratorINS9_10device_ptrIKiEEEESF_NSB_INSC_IiEEEEPS5_SI_SI_NS9_4lessIiEEEE10hipError_tPvRmT0_T1_T2_T3_T4_T5_mmT6_P12ihipStream_tbEUlT_E_NS1_11comp_targetILNS1_3genE2ELNS1_11target_archE906ELNS1_3gpuE6ELNS1_3repE0EEENS1_30default_config_static_selectorELNS0_4arch9wavefront6targetE1EEEvSP_,"axG",@progbits,_ZN7rocprim17ROCPRIM_400000_NS6detail17trampoline_kernelINS0_14default_configENS1_21merge_config_selectorIiNS0_10empty_typeEEEZNS1_10merge_implIS3_N6thrust23THRUST_200600_302600_NS6detail15normal_iteratorINS9_10device_ptrIKiEEEESF_NSB_INSC_IiEEEEPS5_SI_SI_NS9_4lessIiEEEE10hipError_tPvRmT0_T1_T2_T3_T4_T5_mmT6_P12ihipStream_tbEUlT_E_NS1_11comp_targetILNS1_3genE2ELNS1_11target_archE906ELNS1_3gpuE6ELNS1_3repE0EEENS1_30default_config_static_selectorELNS0_4arch9wavefront6targetE1EEEvSP_,comdat
.Lfunc_end5:
	.size	_ZN7rocprim17ROCPRIM_400000_NS6detail17trampoline_kernelINS0_14default_configENS1_21merge_config_selectorIiNS0_10empty_typeEEEZNS1_10merge_implIS3_N6thrust23THRUST_200600_302600_NS6detail15normal_iteratorINS9_10device_ptrIKiEEEESF_NSB_INSC_IiEEEEPS5_SI_SI_NS9_4lessIiEEEE10hipError_tPvRmT0_T1_T2_T3_T4_T5_mmT6_P12ihipStream_tbEUlT_E_NS1_11comp_targetILNS1_3genE2ELNS1_11target_archE906ELNS1_3gpuE6ELNS1_3repE0EEENS1_30default_config_static_selectorELNS0_4arch9wavefront6targetE1EEEvSP_, .Lfunc_end5-_ZN7rocprim17ROCPRIM_400000_NS6detail17trampoline_kernelINS0_14default_configENS1_21merge_config_selectorIiNS0_10empty_typeEEEZNS1_10merge_implIS3_N6thrust23THRUST_200600_302600_NS6detail15normal_iteratorINS9_10device_ptrIKiEEEESF_NSB_INSC_IiEEEEPS5_SI_SI_NS9_4lessIiEEEE10hipError_tPvRmT0_T1_T2_T3_T4_T5_mmT6_P12ihipStream_tbEUlT_E_NS1_11comp_targetILNS1_3genE2ELNS1_11target_archE906ELNS1_3gpuE6ELNS1_3repE0EEENS1_30default_config_static_selectorELNS0_4arch9wavefront6targetE1EEEvSP_
                                        ; -- End function
	.section	.AMDGPU.csdata,"",@progbits
; Kernel info:
; codeLenInByte = 0
; NumSgprs: 4
; NumVgprs: 0
; NumAgprs: 0
; TotalNumVgprs: 0
; ScratchSize: 0
; MemoryBound: 0
; FloatMode: 240
; IeeeMode: 1
; LDSByteSize: 0 bytes/workgroup (compile time only)
; SGPRBlocks: 0
; VGPRBlocks: 0
; NumSGPRsForWavesPerEU: 4
; NumVGPRsForWavesPerEU: 1
; AccumOffset: 4
; Occupancy: 8
; WaveLimiterHint : 0
; COMPUTE_PGM_RSRC2:SCRATCH_EN: 0
; COMPUTE_PGM_RSRC2:USER_SGPR: 6
; COMPUTE_PGM_RSRC2:TRAP_HANDLER: 0
; COMPUTE_PGM_RSRC2:TGID_X_EN: 1
; COMPUTE_PGM_RSRC2:TGID_Y_EN: 0
; COMPUTE_PGM_RSRC2:TGID_Z_EN: 0
; COMPUTE_PGM_RSRC2:TIDIG_COMP_CNT: 0
; COMPUTE_PGM_RSRC3_GFX90A:ACCUM_OFFSET: 0
; COMPUTE_PGM_RSRC3_GFX90A:TG_SPLIT: 0
	.section	.text._ZN7rocprim17ROCPRIM_400000_NS6detail17trampoline_kernelINS0_14default_configENS1_21merge_config_selectorIiNS0_10empty_typeEEEZNS1_10merge_implIS3_N6thrust23THRUST_200600_302600_NS6detail15normal_iteratorINS9_10device_ptrIKiEEEESF_NSB_INSC_IiEEEEPS5_SI_SI_NS9_4lessIiEEEE10hipError_tPvRmT0_T1_T2_T3_T4_T5_mmT6_P12ihipStream_tbEUlT_E_NS1_11comp_targetILNS1_3genE10ELNS1_11target_archE1201ELNS1_3gpuE5ELNS1_3repE0EEENS1_30default_config_static_selectorELNS0_4arch9wavefront6targetE1EEEvSP_,"axG",@progbits,_ZN7rocprim17ROCPRIM_400000_NS6detail17trampoline_kernelINS0_14default_configENS1_21merge_config_selectorIiNS0_10empty_typeEEEZNS1_10merge_implIS3_N6thrust23THRUST_200600_302600_NS6detail15normal_iteratorINS9_10device_ptrIKiEEEESF_NSB_INSC_IiEEEEPS5_SI_SI_NS9_4lessIiEEEE10hipError_tPvRmT0_T1_T2_T3_T4_T5_mmT6_P12ihipStream_tbEUlT_E_NS1_11comp_targetILNS1_3genE10ELNS1_11target_archE1201ELNS1_3gpuE5ELNS1_3repE0EEENS1_30default_config_static_selectorELNS0_4arch9wavefront6targetE1EEEvSP_,comdat
	.protected	_ZN7rocprim17ROCPRIM_400000_NS6detail17trampoline_kernelINS0_14default_configENS1_21merge_config_selectorIiNS0_10empty_typeEEEZNS1_10merge_implIS3_N6thrust23THRUST_200600_302600_NS6detail15normal_iteratorINS9_10device_ptrIKiEEEESF_NSB_INSC_IiEEEEPS5_SI_SI_NS9_4lessIiEEEE10hipError_tPvRmT0_T1_T2_T3_T4_T5_mmT6_P12ihipStream_tbEUlT_E_NS1_11comp_targetILNS1_3genE10ELNS1_11target_archE1201ELNS1_3gpuE5ELNS1_3repE0EEENS1_30default_config_static_selectorELNS0_4arch9wavefront6targetE1EEEvSP_ ; -- Begin function _ZN7rocprim17ROCPRIM_400000_NS6detail17trampoline_kernelINS0_14default_configENS1_21merge_config_selectorIiNS0_10empty_typeEEEZNS1_10merge_implIS3_N6thrust23THRUST_200600_302600_NS6detail15normal_iteratorINS9_10device_ptrIKiEEEESF_NSB_INSC_IiEEEEPS5_SI_SI_NS9_4lessIiEEEE10hipError_tPvRmT0_T1_T2_T3_T4_T5_mmT6_P12ihipStream_tbEUlT_E_NS1_11comp_targetILNS1_3genE10ELNS1_11target_archE1201ELNS1_3gpuE5ELNS1_3repE0EEENS1_30default_config_static_selectorELNS0_4arch9wavefront6targetE1EEEvSP_
	.globl	_ZN7rocprim17ROCPRIM_400000_NS6detail17trampoline_kernelINS0_14default_configENS1_21merge_config_selectorIiNS0_10empty_typeEEEZNS1_10merge_implIS3_N6thrust23THRUST_200600_302600_NS6detail15normal_iteratorINS9_10device_ptrIKiEEEESF_NSB_INSC_IiEEEEPS5_SI_SI_NS9_4lessIiEEEE10hipError_tPvRmT0_T1_T2_T3_T4_T5_mmT6_P12ihipStream_tbEUlT_E_NS1_11comp_targetILNS1_3genE10ELNS1_11target_archE1201ELNS1_3gpuE5ELNS1_3repE0EEENS1_30default_config_static_selectorELNS0_4arch9wavefront6targetE1EEEvSP_
	.p2align	8
	.type	_ZN7rocprim17ROCPRIM_400000_NS6detail17trampoline_kernelINS0_14default_configENS1_21merge_config_selectorIiNS0_10empty_typeEEEZNS1_10merge_implIS3_N6thrust23THRUST_200600_302600_NS6detail15normal_iteratorINS9_10device_ptrIKiEEEESF_NSB_INSC_IiEEEEPS5_SI_SI_NS9_4lessIiEEEE10hipError_tPvRmT0_T1_T2_T3_T4_T5_mmT6_P12ihipStream_tbEUlT_E_NS1_11comp_targetILNS1_3genE10ELNS1_11target_archE1201ELNS1_3gpuE5ELNS1_3repE0EEENS1_30default_config_static_selectorELNS0_4arch9wavefront6targetE1EEEvSP_,@function
_ZN7rocprim17ROCPRIM_400000_NS6detail17trampoline_kernelINS0_14default_configENS1_21merge_config_selectorIiNS0_10empty_typeEEEZNS1_10merge_implIS3_N6thrust23THRUST_200600_302600_NS6detail15normal_iteratorINS9_10device_ptrIKiEEEESF_NSB_INSC_IiEEEEPS5_SI_SI_NS9_4lessIiEEEE10hipError_tPvRmT0_T1_T2_T3_T4_T5_mmT6_P12ihipStream_tbEUlT_E_NS1_11comp_targetILNS1_3genE10ELNS1_11target_archE1201ELNS1_3gpuE5ELNS1_3repE0EEENS1_30default_config_static_selectorELNS0_4arch9wavefront6targetE1EEEvSP_: ; @_ZN7rocprim17ROCPRIM_400000_NS6detail17trampoline_kernelINS0_14default_configENS1_21merge_config_selectorIiNS0_10empty_typeEEEZNS1_10merge_implIS3_N6thrust23THRUST_200600_302600_NS6detail15normal_iteratorINS9_10device_ptrIKiEEEESF_NSB_INSC_IiEEEEPS5_SI_SI_NS9_4lessIiEEEE10hipError_tPvRmT0_T1_T2_T3_T4_T5_mmT6_P12ihipStream_tbEUlT_E_NS1_11comp_targetILNS1_3genE10ELNS1_11target_archE1201ELNS1_3gpuE5ELNS1_3repE0EEENS1_30default_config_static_selectorELNS0_4arch9wavefront6targetE1EEEvSP_
; %bb.0:
	.section	.rodata,"a",@progbits
	.p2align	6, 0x0
	.amdhsa_kernel _ZN7rocprim17ROCPRIM_400000_NS6detail17trampoline_kernelINS0_14default_configENS1_21merge_config_selectorIiNS0_10empty_typeEEEZNS1_10merge_implIS3_N6thrust23THRUST_200600_302600_NS6detail15normal_iteratorINS9_10device_ptrIKiEEEESF_NSB_INSC_IiEEEEPS5_SI_SI_NS9_4lessIiEEEE10hipError_tPvRmT0_T1_T2_T3_T4_T5_mmT6_P12ihipStream_tbEUlT_E_NS1_11comp_targetILNS1_3genE10ELNS1_11target_archE1201ELNS1_3gpuE5ELNS1_3repE0EEENS1_30default_config_static_selectorELNS0_4arch9wavefront6targetE1EEEvSP_
		.amdhsa_group_segment_fixed_size 0
		.amdhsa_private_segment_fixed_size 0
		.amdhsa_kernarg_size 48
		.amdhsa_user_sgpr_count 6
		.amdhsa_user_sgpr_private_segment_buffer 1
		.amdhsa_user_sgpr_dispatch_ptr 0
		.amdhsa_user_sgpr_queue_ptr 0
		.amdhsa_user_sgpr_kernarg_segment_ptr 1
		.amdhsa_user_sgpr_dispatch_id 0
		.amdhsa_user_sgpr_flat_scratch_init 0
		.amdhsa_user_sgpr_kernarg_preload_length 0
		.amdhsa_user_sgpr_kernarg_preload_offset 0
		.amdhsa_user_sgpr_private_segment_size 0
		.amdhsa_uses_dynamic_stack 0
		.amdhsa_system_sgpr_private_segment_wavefront_offset 0
		.amdhsa_system_sgpr_workgroup_id_x 1
		.amdhsa_system_sgpr_workgroup_id_y 0
		.amdhsa_system_sgpr_workgroup_id_z 0
		.amdhsa_system_sgpr_workgroup_info 0
		.amdhsa_system_vgpr_workitem_id 0
		.amdhsa_next_free_vgpr 1
		.amdhsa_next_free_sgpr 0
		.amdhsa_accum_offset 4
		.amdhsa_reserve_vcc 0
		.amdhsa_reserve_flat_scratch 0
		.amdhsa_float_round_mode_32 0
		.amdhsa_float_round_mode_16_64 0
		.amdhsa_float_denorm_mode_32 3
		.amdhsa_float_denorm_mode_16_64 3
		.amdhsa_dx10_clamp 1
		.amdhsa_ieee_mode 1
		.amdhsa_fp16_overflow 0
		.amdhsa_tg_split 0
		.amdhsa_exception_fp_ieee_invalid_op 0
		.amdhsa_exception_fp_denorm_src 0
		.amdhsa_exception_fp_ieee_div_zero 0
		.amdhsa_exception_fp_ieee_overflow 0
		.amdhsa_exception_fp_ieee_underflow 0
		.amdhsa_exception_fp_ieee_inexact 0
		.amdhsa_exception_int_div_zero 0
	.end_amdhsa_kernel
	.section	.text._ZN7rocprim17ROCPRIM_400000_NS6detail17trampoline_kernelINS0_14default_configENS1_21merge_config_selectorIiNS0_10empty_typeEEEZNS1_10merge_implIS3_N6thrust23THRUST_200600_302600_NS6detail15normal_iteratorINS9_10device_ptrIKiEEEESF_NSB_INSC_IiEEEEPS5_SI_SI_NS9_4lessIiEEEE10hipError_tPvRmT0_T1_T2_T3_T4_T5_mmT6_P12ihipStream_tbEUlT_E_NS1_11comp_targetILNS1_3genE10ELNS1_11target_archE1201ELNS1_3gpuE5ELNS1_3repE0EEENS1_30default_config_static_selectorELNS0_4arch9wavefront6targetE1EEEvSP_,"axG",@progbits,_ZN7rocprim17ROCPRIM_400000_NS6detail17trampoline_kernelINS0_14default_configENS1_21merge_config_selectorIiNS0_10empty_typeEEEZNS1_10merge_implIS3_N6thrust23THRUST_200600_302600_NS6detail15normal_iteratorINS9_10device_ptrIKiEEEESF_NSB_INSC_IiEEEEPS5_SI_SI_NS9_4lessIiEEEE10hipError_tPvRmT0_T1_T2_T3_T4_T5_mmT6_P12ihipStream_tbEUlT_E_NS1_11comp_targetILNS1_3genE10ELNS1_11target_archE1201ELNS1_3gpuE5ELNS1_3repE0EEENS1_30default_config_static_selectorELNS0_4arch9wavefront6targetE1EEEvSP_,comdat
.Lfunc_end6:
	.size	_ZN7rocprim17ROCPRIM_400000_NS6detail17trampoline_kernelINS0_14default_configENS1_21merge_config_selectorIiNS0_10empty_typeEEEZNS1_10merge_implIS3_N6thrust23THRUST_200600_302600_NS6detail15normal_iteratorINS9_10device_ptrIKiEEEESF_NSB_INSC_IiEEEEPS5_SI_SI_NS9_4lessIiEEEE10hipError_tPvRmT0_T1_T2_T3_T4_T5_mmT6_P12ihipStream_tbEUlT_E_NS1_11comp_targetILNS1_3genE10ELNS1_11target_archE1201ELNS1_3gpuE5ELNS1_3repE0EEENS1_30default_config_static_selectorELNS0_4arch9wavefront6targetE1EEEvSP_, .Lfunc_end6-_ZN7rocprim17ROCPRIM_400000_NS6detail17trampoline_kernelINS0_14default_configENS1_21merge_config_selectorIiNS0_10empty_typeEEEZNS1_10merge_implIS3_N6thrust23THRUST_200600_302600_NS6detail15normal_iteratorINS9_10device_ptrIKiEEEESF_NSB_INSC_IiEEEEPS5_SI_SI_NS9_4lessIiEEEE10hipError_tPvRmT0_T1_T2_T3_T4_T5_mmT6_P12ihipStream_tbEUlT_E_NS1_11comp_targetILNS1_3genE10ELNS1_11target_archE1201ELNS1_3gpuE5ELNS1_3repE0EEENS1_30default_config_static_selectorELNS0_4arch9wavefront6targetE1EEEvSP_
                                        ; -- End function
	.section	.AMDGPU.csdata,"",@progbits
; Kernel info:
; codeLenInByte = 0
; NumSgprs: 4
; NumVgprs: 0
; NumAgprs: 0
; TotalNumVgprs: 0
; ScratchSize: 0
; MemoryBound: 0
; FloatMode: 240
; IeeeMode: 1
; LDSByteSize: 0 bytes/workgroup (compile time only)
; SGPRBlocks: 0
; VGPRBlocks: 0
; NumSGPRsForWavesPerEU: 4
; NumVGPRsForWavesPerEU: 1
; AccumOffset: 4
; Occupancy: 8
; WaveLimiterHint : 0
; COMPUTE_PGM_RSRC2:SCRATCH_EN: 0
; COMPUTE_PGM_RSRC2:USER_SGPR: 6
; COMPUTE_PGM_RSRC2:TRAP_HANDLER: 0
; COMPUTE_PGM_RSRC2:TGID_X_EN: 1
; COMPUTE_PGM_RSRC2:TGID_Y_EN: 0
; COMPUTE_PGM_RSRC2:TGID_Z_EN: 0
; COMPUTE_PGM_RSRC2:TIDIG_COMP_CNT: 0
; COMPUTE_PGM_RSRC3_GFX90A:ACCUM_OFFSET: 0
; COMPUTE_PGM_RSRC3_GFX90A:TG_SPLIT: 0
	.section	.text._ZN7rocprim17ROCPRIM_400000_NS6detail17trampoline_kernelINS0_14default_configENS1_21merge_config_selectorIiNS0_10empty_typeEEEZNS1_10merge_implIS3_N6thrust23THRUST_200600_302600_NS6detail15normal_iteratorINS9_10device_ptrIKiEEEESF_NSB_INSC_IiEEEEPS5_SI_SI_NS9_4lessIiEEEE10hipError_tPvRmT0_T1_T2_T3_T4_T5_mmT6_P12ihipStream_tbEUlT_E_NS1_11comp_targetILNS1_3genE10ELNS1_11target_archE1200ELNS1_3gpuE4ELNS1_3repE0EEENS1_30default_config_static_selectorELNS0_4arch9wavefront6targetE1EEEvSP_,"axG",@progbits,_ZN7rocprim17ROCPRIM_400000_NS6detail17trampoline_kernelINS0_14default_configENS1_21merge_config_selectorIiNS0_10empty_typeEEEZNS1_10merge_implIS3_N6thrust23THRUST_200600_302600_NS6detail15normal_iteratorINS9_10device_ptrIKiEEEESF_NSB_INSC_IiEEEEPS5_SI_SI_NS9_4lessIiEEEE10hipError_tPvRmT0_T1_T2_T3_T4_T5_mmT6_P12ihipStream_tbEUlT_E_NS1_11comp_targetILNS1_3genE10ELNS1_11target_archE1200ELNS1_3gpuE4ELNS1_3repE0EEENS1_30default_config_static_selectorELNS0_4arch9wavefront6targetE1EEEvSP_,comdat
	.protected	_ZN7rocprim17ROCPRIM_400000_NS6detail17trampoline_kernelINS0_14default_configENS1_21merge_config_selectorIiNS0_10empty_typeEEEZNS1_10merge_implIS3_N6thrust23THRUST_200600_302600_NS6detail15normal_iteratorINS9_10device_ptrIKiEEEESF_NSB_INSC_IiEEEEPS5_SI_SI_NS9_4lessIiEEEE10hipError_tPvRmT0_T1_T2_T3_T4_T5_mmT6_P12ihipStream_tbEUlT_E_NS1_11comp_targetILNS1_3genE10ELNS1_11target_archE1200ELNS1_3gpuE4ELNS1_3repE0EEENS1_30default_config_static_selectorELNS0_4arch9wavefront6targetE1EEEvSP_ ; -- Begin function _ZN7rocprim17ROCPRIM_400000_NS6detail17trampoline_kernelINS0_14default_configENS1_21merge_config_selectorIiNS0_10empty_typeEEEZNS1_10merge_implIS3_N6thrust23THRUST_200600_302600_NS6detail15normal_iteratorINS9_10device_ptrIKiEEEESF_NSB_INSC_IiEEEEPS5_SI_SI_NS9_4lessIiEEEE10hipError_tPvRmT0_T1_T2_T3_T4_T5_mmT6_P12ihipStream_tbEUlT_E_NS1_11comp_targetILNS1_3genE10ELNS1_11target_archE1200ELNS1_3gpuE4ELNS1_3repE0EEENS1_30default_config_static_selectorELNS0_4arch9wavefront6targetE1EEEvSP_
	.globl	_ZN7rocprim17ROCPRIM_400000_NS6detail17trampoline_kernelINS0_14default_configENS1_21merge_config_selectorIiNS0_10empty_typeEEEZNS1_10merge_implIS3_N6thrust23THRUST_200600_302600_NS6detail15normal_iteratorINS9_10device_ptrIKiEEEESF_NSB_INSC_IiEEEEPS5_SI_SI_NS9_4lessIiEEEE10hipError_tPvRmT0_T1_T2_T3_T4_T5_mmT6_P12ihipStream_tbEUlT_E_NS1_11comp_targetILNS1_3genE10ELNS1_11target_archE1200ELNS1_3gpuE4ELNS1_3repE0EEENS1_30default_config_static_selectorELNS0_4arch9wavefront6targetE1EEEvSP_
	.p2align	8
	.type	_ZN7rocprim17ROCPRIM_400000_NS6detail17trampoline_kernelINS0_14default_configENS1_21merge_config_selectorIiNS0_10empty_typeEEEZNS1_10merge_implIS3_N6thrust23THRUST_200600_302600_NS6detail15normal_iteratorINS9_10device_ptrIKiEEEESF_NSB_INSC_IiEEEEPS5_SI_SI_NS9_4lessIiEEEE10hipError_tPvRmT0_T1_T2_T3_T4_T5_mmT6_P12ihipStream_tbEUlT_E_NS1_11comp_targetILNS1_3genE10ELNS1_11target_archE1200ELNS1_3gpuE4ELNS1_3repE0EEENS1_30default_config_static_selectorELNS0_4arch9wavefront6targetE1EEEvSP_,@function
_ZN7rocprim17ROCPRIM_400000_NS6detail17trampoline_kernelINS0_14default_configENS1_21merge_config_selectorIiNS0_10empty_typeEEEZNS1_10merge_implIS3_N6thrust23THRUST_200600_302600_NS6detail15normal_iteratorINS9_10device_ptrIKiEEEESF_NSB_INSC_IiEEEEPS5_SI_SI_NS9_4lessIiEEEE10hipError_tPvRmT0_T1_T2_T3_T4_T5_mmT6_P12ihipStream_tbEUlT_E_NS1_11comp_targetILNS1_3genE10ELNS1_11target_archE1200ELNS1_3gpuE4ELNS1_3repE0EEENS1_30default_config_static_selectorELNS0_4arch9wavefront6targetE1EEEvSP_: ; @_ZN7rocprim17ROCPRIM_400000_NS6detail17trampoline_kernelINS0_14default_configENS1_21merge_config_selectorIiNS0_10empty_typeEEEZNS1_10merge_implIS3_N6thrust23THRUST_200600_302600_NS6detail15normal_iteratorINS9_10device_ptrIKiEEEESF_NSB_INSC_IiEEEEPS5_SI_SI_NS9_4lessIiEEEE10hipError_tPvRmT0_T1_T2_T3_T4_T5_mmT6_P12ihipStream_tbEUlT_E_NS1_11comp_targetILNS1_3genE10ELNS1_11target_archE1200ELNS1_3gpuE4ELNS1_3repE0EEENS1_30default_config_static_selectorELNS0_4arch9wavefront6targetE1EEEvSP_
; %bb.0:
	.section	.rodata,"a",@progbits
	.p2align	6, 0x0
	.amdhsa_kernel _ZN7rocprim17ROCPRIM_400000_NS6detail17trampoline_kernelINS0_14default_configENS1_21merge_config_selectorIiNS0_10empty_typeEEEZNS1_10merge_implIS3_N6thrust23THRUST_200600_302600_NS6detail15normal_iteratorINS9_10device_ptrIKiEEEESF_NSB_INSC_IiEEEEPS5_SI_SI_NS9_4lessIiEEEE10hipError_tPvRmT0_T1_T2_T3_T4_T5_mmT6_P12ihipStream_tbEUlT_E_NS1_11comp_targetILNS1_3genE10ELNS1_11target_archE1200ELNS1_3gpuE4ELNS1_3repE0EEENS1_30default_config_static_selectorELNS0_4arch9wavefront6targetE1EEEvSP_
		.amdhsa_group_segment_fixed_size 0
		.amdhsa_private_segment_fixed_size 0
		.amdhsa_kernarg_size 48
		.amdhsa_user_sgpr_count 6
		.amdhsa_user_sgpr_private_segment_buffer 1
		.amdhsa_user_sgpr_dispatch_ptr 0
		.amdhsa_user_sgpr_queue_ptr 0
		.amdhsa_user_sgpr_kernarg_segment_ptr 1
		.amdhsa_user_sgpr_dispatch_id 0
		.amdhsa_user_sgpr_flat_scratch_init 0
		.amdhsa_user_sgpr_kernarg_preload_length 0
		.amdhsa_user_sgpr_kernarg_preload_offset 0
		.amdhsa_user_sgpr_private_segment_size 0
		.amdhsa_uses_dynamic_stack 0
		.amdhsa_system_sgpr_private_segment_wavefront_offset 0
		.amdhsa_system_sgpr_workgroup_id_x 1
		.amdhsa_system_sgpr_workgroup_id_y 0
		.amdhsa_system_sgpr_workgroup_id_z 0
		.amdhsa_system_sgpr_workgroup_info 0
		.amdhsa_system_vgpr_workitem_id 0
		.amdhsa_next_free_vgpr 1
		.amdhsa_next_free_sgpr 0
		.amdhsa_accum_offset 4
		.amdhsa_reserve_vcc 0
		.amdhsa_reserve_flat_scratch 0
		.amdhsa_float_round_mode_32 0
		.amdhsa_float_round_mode_16_64 0
		.amdhsa_float_denorm_mode_32 3
		.amdhsa_float_denorm_mode_16_64 3
		.amdhsa_dx10_clamp 1
		.amdhsa_ieee_mode 1
		.amdhsa_fp16_overflow 0
		.amdhsa_tg_split 0
		.amdhsa_exception_fp_ieee_invalid_op 0
		.amdhsa_exception_fp_denorm_src 0
		.amdhsa_exception_fp_ieee_div_zero 0
		.amdhsa_exception_fp_ieee_overflow 0
		.amdhsa_exception_fp_ieee_underflow 0
		.amdhsa_exception_fp_ieee_inexact 0
		.amdhsa_exception_int_div_zero 0
	.end_amdhsa_kernel
	.section	.text._ZN7rocprim17ROCPRIM_400000_NS6detail17trampoline_kernelINS0_14default_configENS1_21merge_config_selectorIiNS0_10empty_typeEEEZNS1_10merge_implIS3_N6thrust23THRUST_200600_302600_NS6detail15normal_iteratorINS9_10device_ptrIKiEEEESF_NSB_INSC_IiEEEEPS5_SI_SI_NS9_4lessIiEEEE10hipError_tPvRmT0_T1_T2_T3_T4_T5_mmT6_P12ihipStream_tbEUlT_E_NS1_11comp_targetILNS1_3genE10ELNS1_11target_archE1200ELNS1_3gpuE4ELNS1_3repE0EEENS1_30default_config_static_selectorELNS0_4arch9wavefront6targetE1EEEvSP_,"axG",@progbits,_ZN7rocprim17ROCPRIM_400000_NS6detail17trampoline_kernelINS0_14default_configENS1_21merge_config_selectorIiNS0_10empty_typeEEEZNS1_10merge_implIS3_N6thrust23THRUST_200600_302600_NS6detail15normal_iteratorINS9_10device_ptrIKiEEEESF_NSB_INSC_IiEEEEPS5_SI_SI_NS9_4lessIiEEEE10hipError_tPvRmT0_T1_T2_T3_T4_T5_mmT6_P12ihipStream_tbEUlT_E_NS1_11comp_targetILNS1_3genE10ELNS1_11target_archE1200ELNS1_3gpuE4ELNS1_3repE0EEENS1_30default_config_static_selectorELNS0_4arch9wavefront6targetE1EEEvSP_,comdat
.Lfunc_end7:
	.size	_ZN7rocprim17ROCPRIM_400000_NS6detail17trampoline_kernelINS0_14default_configENS1_21merge_config_selectorIiNS0_10empty_typeEEEZNS1_10merge_implIS3_N6thrust23THRUST_200600_302600_NS6detail15normal_iteratorINS9_10device_ptrIKiEEEESF_NSB_INSC_IiEEEEPS5_SI_SI_NS9_4lessIiEEEE10hipError_tPvRmT0_T1_T2_T3_T4_T5_mmT6_P12ihipStream_tbEUlT_E_NS1_11comp_targetILNS1_3genE10ELNS1_11target_archE1200ELNS1_3gpuE4ELNS1_3repE0EEENS1_30default_config_static_selectorELNS0_4arch9wavefront6targetE1EEEvSP_, .Lfunc_end7-_ZN7rocprim17ROCPRIM_400000_NS6detail17trampoline_kernelINS0_14default_configENS1_21merge_config_selectorIiNS0_10empty_typeEEEZNS1_10merge_implIS3_N6thrust23THRUST_200600_302600_NS6detail15normal_iteratorINS9_10device_ptrIKiEEEESF_NSB_INSC_IiEEEEPS5_SI_SI_NS9_4lessIiEEEE10hipError_tPvRmT0_T1_T2_T3_T4_T5_mmT6_P12ihipStream_tbEUlT_E_NS1_11comp_targetILNS1_3genE10ELNS1_11target_archE1200ELNS1_3gpuE4ELNS1_3repE0EEENS1_30default_config_static_selectorELNS0_4arch9wavefront6targetE1EEEvSP_
                                        ; -- End function
	.section	.AMDGPU.csdata,"",@progbits
; Kernel info:
; codeLenInByte = 0
; NumSgprs: 4
; NumVgprs: 0
; NumAgprs: 0
; TotalNumVgprs: 0
; ScratchSize: 0
; MemoryBound: 0
; FloatMode: 240
; IeeeMode: 1
; LDSByteSize: 0 bytes/workgroup (compile time only)
; SGPRBlocks: 0
; VGPRBlocks: 0
; NumSGPRsForWavesPerEU: 4
; NumVGPRsForWavesPerEU: 1
; AccumOffset: 4
; Occupancy: 8
; WaveLimiterHint : 0
; COMPUTE_PGM_RSRC2:SCRATCH_EN: 0
; COMPUTE_PGM_RSRC2:USER_SGPR: 6
; COMPUTE_PGM_RSRC2:TRAP_HANDLER: 0
; COMPUTE_PGM_RSRC2:TGID_X_EN: 1
; COMPUTE_PGM_RSRC2:TGID_Y_EN: 0
; COMPUTE_PGM_RSRC2:TGID_Z_EN: 0
; COMPUTE_PGM_RSRC2:TIDIG_COMP_CNT: 0
; COMPUTE_PGM_RSRC3_GFX90A:ACCUM_OFFSET: 0
; COMPUTE_PGM_RSRC3_GFX90A:TG_SPLIT: 0
	.section	.text._ZN7rocprim17ROCPRIM_400000_NS6detail17trampoline_kernelINS0_14default_configENS1_21merge_config_selectorIiNS0_10empty_typeEEEZNS1_10merge_implIS3_N6thrust23THRUST_200600_302600_NS6detail15normal_iteratorINS9_10device_ptrIKiEEEESF_NSB_INSC_IiEEEEPS5_SI_SI_NS9_4lessIiEEEE10hipError_tPvRmT0_T1_T2_T3_T4_T5_mmT6_P12ihipStream_tbEUlT_E_NS1_11comp_targetILNS1_3genE9ELNS1_11target_archE1100ELNS1_3gpuE3ELNS1_3repE0EEENS1_30default_config_static_selectorELNS0_4arch9wavefront6targetE1EEEvSP_,"axG",@progbits,_ZN7rocprim17ROCPRIM_400000_NS6detail17trampoline_kernelINS0_14default_configENS1_21merge_config_selectorIiNS0_10empty_typeEEEZNS1_10merge_implIS3_N6thrust23THRUST_200600_302600_NS6detail15normal_iteratorINS9_10device_ptrIKiEEEESF_NSB_INSC_IiEEEEPS5_SI_SI_NS9_4lessIiEEEE10hipError_tPvRmT0_T1_T2_T3_T4_T5_mmT6_P12ihipStream_tbEUlT_E_NS1_11comp_targetILNS1_3genE9ELNS1_11target_archE1100ELNS1_3gpuE3ELNS1_3repE0EEENS1_30default_config_static_selectorELNS0_4arch9wavefront6targetE1EEEvSP_,comdat
	.protected	_ZN7rocprim17ROCPRIM_400000_NS6detail17trampoline_kernelINS0_14default_configENS1_21merge_config_selectorIiNS0_10empty_typeEEEZNS1_10merge_implIS3_N6thrust23THRUST_200600_302600_NS6detail15normal_iteratorINS9_10device_ptrIKiEEEESF_NSB_INSC_IiEEEEPS5_SI_SI_NS9_4lessIiEEEE10hipError_tPvRmT0_T1_T2_T3_T4_T5_mmT6_P12ihipStream_tbEUlT_E_NS1_11comp_targetILNS1_3genE9ELNS1_11target_archE1100ELNS1_3gpuE3ELNS1_3repE0EEENS1_30default_config_static_selectorELNS0_4arch9wavefront6targetE1EEEvSP_ ; -- Begin function _ZN7rocprim17ROCPRIM_400000_NS6detail17trampoline_kernelINS0_14default_configENS1_21merge_config_selectorIiNS0_10empty_typeEEEZNS1_10merge_implIS3_N6thrust23THRUST_200600_302600_NS6detail15normal_iteratorINS9_10device_ptrIKiEEEESF_NSB_INSC_IiEEEEPS5_SI_SI_NS9_4lessIiEEEE10hipError_tPvRmT0_T1_T2_T3_T4_T5_mmT6_P12ihipStream_tbEUlT_E_NS1_11comp_targetILNS1_3genE9ELNS1_11target_archE1100ELNS1_3gpuE3ELNS1_3repE0EEENS1_30default_config_static_selectorELNS0_4arch9wavefront6targetE1EEEvSP_
	.globl	_ZN7rocprim17ROCPRIM_400000_NS6detail17trampoline_kernelINS0_14default_configENS1_21merge_config_selectorIiNS0_10empty_typeEEEZNS1_10merge_implIS3_N6thrust23THRUST_200600_302600_NS6detail15normal_iteratorINS9_10device_ptrIKiEEEESF_NSB_INSC_IiEEEEPS5_SI_SI_NS9_4lessIiEEEE10hipError_tPvRmT0_T1_T2_T3_T4_T5_mmT6_P12ihipStream_tbEUlT_E_NS1_11comp_targetILNS1_3genE9ELNS1_11target_archE1100ELNS1_3gpuE3ELNS1_3repE0EEENS1_30default_config_static_selectorELNS0_4arch9wavefront6targetE1EEEvSP_
	.p2align	8
	.type	_ZN7rocprim17ROCPRIM_400000_NS6detail17trampoline_kernelINS0_14default_configENS1_21merge_config_selectorIiNS0_10empty_typeEEEZNS1_10merge_implIS3_N6thrust23THRUST_200600_302600_NS6detail15normal_iteratorINS9_10device_ptrIKiEEEESF_NSB_INSC_IiEEEEPS5_SI_SI_NS9_4lessIiEEEE10hipError_tPvRmT0_T1_T2_T3_T4_T5_mmT6_P12ihipStream_tbEUlT_E_NS1_11comp_targetILNS1_3genE9ELNS1_11target_archE1100ELNS1_3gpuE3ELNS1_3repE0EEENS1_30default_config_static_selectorELNS0_4arch9wavefront6targetE1EEEvSP_,@function
_ZN7rocprim17ROCPRIM_400000_NS6detail17trampoline_kernelINS0_14default_configENS1_21merge_config_selectorIiNS0_10empty_typeEEEZNS1_10merge_implIS3_N6thrust23THRUST_200600_302600_NS6detail15normal_iteratorINS9_10device_ptrIKiEEEESF_NSB_INSC_IiEEEEPS5_SI_SI_NS9_4lessIiEEEE10hipError_tPvRmT0_T1_T2_T3_T4_T5_mmT6_P12ihipStream_tbEUlT_E_NS1_11comp_targetILNS1_3genE9ELNS1_11target_archE1100ELNS1_3gpuE3ELNS1_3repE0EEENS1_30default_config_static_selectorELNS0_4arch9wavefront6targetE1EEEvSP_: ; @_ZN7rocprim17ROCPRIM_400000_NS6detail17trampoline_kernelINS0_14default_configENS1_21merge_config_selectorIiNS0_10empty_typeEEEZNS1_10merge_implIS3_N6thrust23THRUST_200600_302600_NS6detail15normal_iteratorINS9_10device_ptrIKiEEEESF_NSB_INSC_IiEEEEPS5_SI_SI_NS9_4lessIiEEEE10hipError_tPvRmT0_T1_T2_T3_T4_T5_mmT6_P12ihipStream_tbEUlT_E_NS1_11comp_targetILNS1_3genE9ELNS1_11target_archE1100ELNS1_3gpuE3ELNS1_3repE0EEENS1_30default_config_static_selectorELNS0_4arch9wavefront6targetE1EEEvSP_
; %bb.0:
	.section	.rodata,"a",@progbits
	.p2align	6, 0x0
	.amdhsa_kernel _ZN7rocprim17ROCPRIM_400000_NS6detail17trampoline_kernelINS0_14default_configENS1_21merge_config_selectorIiNS0_10empty_typeEEEZNS1_10merge_implIS3_N6thrust23THRUST_200600_302600_NS6detail15normal_iteratorINS9_10device_ptrIKiEEEESF_NSB_INSC_IiEEEEPS5_SI_SI_NS9_4lessIiEEEE10hipError_tPvRmT0_T1_T2_T3_T4_T5_mmT6_P12ihipStream_tbEUlT_E_NS1_11comp_targetILNS1_3genE9ELNS1_11target_archE1100ELNS1_3gpuE3ELNS1_3repE0EEENS1_30default_config_static_selectorELNS0_4arch9wavefront6targetE1EEEvSP_
		.amdhsa_group_segment_fixed_size 0
		.amdhsa_private_segment_fixed_size 0
		.amdhsa_kernarg_size 48
		.amdhsa_user_sgpr_count 6
		.amdhsa_user_sgpr_private_segment_buffer 1
		.amdhsa_user_sgpr_dispatch_ptr 0
		.amdhsa_user_sgpr_queue_ptr 0
		.amdhsa_user_sgpr_kernarg_segment_ptr 1
		.amdhsa_user_sgpr_dispatch_id 0
		.amdhsa_user_sgpr_flat_scratch_init 0
		.amdhsa_user_sgpr_kernarg_preload_length 0
		.amdhsa_user_sgpr_kernarg_preload_offset 0
		.amdhsa_user_sgpr_private_segment_size 0
		.amdhsa_uses_dynamic_stack 0
		.amdhsa_system_sgpr_private_segment_wavefront_offset 0
		.amdhsa_system_sgpr_workgroup_id_x 1
		.amdhsa_system_sgpr_workgroup_id_y 0
		.amdhsa_system_sgpr_workgroup_id_z 0
		.amdhsa_system_sgpr_workgroup_info 0
		.amdhsa_system_vgpr_workitem_id 0
		.amdhsa_next_free_vgpr 1
		.amdhsa_next_free_sgpr 0
		.amdhsa_accum_offset 4
		.amdhsa_reserve_vcc 0
		.amdhsa_reserve_flat_scratch 0
		.amdhsa_float_round_mode_32 0
		.amdhsa_float_round_mode_16_64 0
		.amdhsa_float_denorm_mode_32 3
		.amdhsa_float_denorm_mode_16_64 3
		.amdhsa_dx10_clamp 1
		.amdhsa_ieee_mode 1
		.amdhsa_fp16_overflow 0
		.amdhsa_tg_split 0
		.amdhsa_exception_fp_ieee_invalid_op 0
		.amdhsa_exception_fp_denorm_src 0
		.amdhsa_exception_fp_ieee_div_zero 0
		.amdhsa_exception_fp_ieee_overflow 0
		.amdhsa_exception_fp_ieee_underflow 0
		.amdhsa_exception_fp_ieee_inexact 0
		.amdhsa_exception_int_div_zero 0
	.end_amdhsa_kernel
	.section	.text._ZN7rocprim17ROCPRIM_400000_NS6detail17trampoline_kernelINS0_14default_configENS1_21merge_config_selectorIiNS0_10empty_typeEEEZNS1_10merge_implIS3_N6thrust23THRUST_200600_302600_NS6detail15normal_iteratorINS9_10device_ptrIKiEEEESF_NSB_INSC_IiEEEEPS5_SI_SI_NS9_4lessIiEEEE10hipError_tPvRmT0_T1_T2_T3_T4_T5_mmT6_P12ihipStream_tbEUlT_E_NS1_11comp_targetILNS1_3genE9ELNS1_11target_archE1100ELNS1_3gpuE3ELNS1_3repE0EEENS1_30default_config_static_selectorELNS0_4arch9wavefront6targetE1EEEvSP_,"axG",@progbits,_ZN7rocprim17ROCPRIM_400000_NS6detail17trampoline_kernelINS0_14default_configENS1_21merge_config_selectorIiNS0_10empty_typeEEEZNS1_10merge_implIS3_N6thrust23THRUST_200600_302600_NS6detail15normal_iteratorINS9_10device_ptrIKiEEEESF_NSB_INSC_IiEEEEPS5_SI_SI_NS9_4lessIiEEEE10hipError_tPvRmT0_T1_T2_T3_T4_T5_mmT6_P12ihipStream_tbEUlT_E_NS1_11comp_targetILNS1_3genE9ELNS1_11target_archE1100ELNS1_3gpuE3ELNS1_3repE0EEENS1_30default_config_static_selectorELNS0_4arch9wavefront6targetE1EEEvSP_,comdat
.Lfunc_end8:
	.size	_ZN7rocprim17ROCPRIM_400000_NS6detail17trampoline_kernelINS0_14default_configENS1_21merge_config_selectorIiNS0_10empty_typeEEEZNS1_10merge_implIS3_N6thrust23THRUST_200600_302600_NS6detail15normal_iteratorINS9_10device_ptrIKiEEEESF_NSB_INSC_IiEEEEPS5_SI_SI_NS9_4lessIiEEEE10hipError_tPvRmT0_T1_T2_T3_T4_T5_mmT6_P12ihipStream_tbEUlT_E_NS1_11comp_targetILNS1_3genE9ELNS1_11target_archE1100ELNS1_3gpuE3ELNS1_3repE0EEENS1_30default_config_static_selectorELNS0_4arch9wavefront6targetE1EEEvSP_, .Lfunc_end8-_ZN7rocprim17ROCPRIM_400000_NS6detail17trampoline_kernelINS0_14default_configENS1_21merge_config_selectorIiNS0_10empty_typeEEEZNS1_10merge_implIS3_N6thrust23THRUST_200600_302600_NS6detail15normal_iteratorINS9_10device_ptrIKiEEEESF_NSB_INSC_IiEEEEPS5_SI_SI_NS9_4lessIiEEEE10hipError_tPvRmT0_T1_T2_T3_T4_T5_mmT6_P12ihipStream_tbEUlT_E_NS1_11comp_targetILNS1_3genE9ELNS1_11target_archE1100ELNS1_3gpuE3ELNS1_3repE0EEENS1_30default_config_static_selectorELNS0_4arch9wavefront6targetE1EEEvSP_
                                        ; -- End function
	.section	.AMDGPU.csdata,"",@progbits
; Kernel info:
; codeLenInByte = 0
; NumSgprs: 4
; NumVgprs: 0
; NumAgprs: 0
; TotalNumVgprs: 0
; ScratchSize: 0
; MemoryBound: 0
; FloatMode: 240
; IeeeMode: 1
; LDSByteSize: 0 bytes/workgroup (compile time only)
; SGPRBlocks: 0
; VGPRBlocks: 0
; NumSGPRsForWavesPerEU: 4
; NumVGPRsForWavesPerEU: 1
; AccumOffset: 4
; Occupancy: 8
; WaveLimiterHint : 0
; COMPUTE_PGM_RSRC2:SCRATCH_EN: 0
; COMPUTE_PGM_RSRC2:USER_SGPR: 6
; COMPUTE_PGM_RSRC2:TRAP_HANDLER: 0
; COMPUTE_PGM_RSRC2:TGID_X_EN: 1
; COMPUTE_PGM_RSRC2:TGID_Y_EN: 0
; COMPUTE_PGM_RSRC2:TGID_Z_EN: 0
; COMPUTE_PGM_RSRC2:TIDIG_COMP_CNT: 0
; COMPUTE_PGM_RSRC3_GFX90A:ACCUM_OFFSET: 0
; COMPUTE_PGM_RSRC3_GFX90A:TG_SPLIT: 0
	.section	.text._ZN7rocprim17ROCPRIM_400000_NS6detail17trampoline_kernelINS0_14default_configENS1_21merge_config_selectorIiNS0_10empty_typeEEEZNS1_10merge_implIS3_N6thrust23THRUST_200600_302600_NS6detail15normal_iteratorINS9_10device_ptrIKiEEEESF_NSB_INSC_IiEEEEPS5_SI_SI_NS9_4lessIiEEEE10hipError_tPvRmT0_T1_T2_T3_T4_T5_mmT6_P12ihipStream_tbEUlT_E_NS1_11comp_targetILNS1_3genE8ELNS1_11target_archE1030ELNS1_3gpuE2ELNS1_3repE0EEENS1_30default_config_static_selectorELNS0_4arch9wavefront6targetE1EEEvSP_,"axG",@progbits,_ZN7rocprim17ROCPRIM_400000_NS6detail17trampoline_kernelINS0_14default_configENS1_21merge_config_selectorIiNS0_10empty_typeEEEZNS1_10merge_implIS3_N6thrust23THRUST_200600_302600_NS6detail15normal_iteratorINS9_10device_ptrIKiEEEESF_NSB_INSC_IiEEEEPS5_SI_SI_NS9_4lessIiEEEE10hipError_tPvRmT0_T1_T2_T3_T4_T5_mmT6_P12ihipStream_tbEUlT_E_NS1_11comp_targetILNS1_3genE8ELNS1_11target_archE1030ELNS1_3gpuE2ELNS1_3repE0EEENS1_30default_config_static_selectorELNS0_4arch9wavefront6targetE1EEEvSP_,comdat
	.protected	_ZN7rocprim17ROCPRIM_400000_NS6detail17trampoline_kernelINS0_14default_configENS1_21merge_config_selectorIiNS0_10empty_typeEEEZNS1_10merge_implIS3_N6thrust23THRUST_200600_302600_NS6detail15normal_iteratorINS9_10device_ptrIKiEEEESF_NSB_INSC_IiEEEEPS5_SI_SI_NS9_4lessIiEEEE10hipError_tPvRmT0_T1_T2_T3_T4_T5_mmT6_P12ihipStream_tbEUlT_E_NS1_11comp_targetILNS1_3genE8ELNS1_11target_archE1030ELNS1_3gpuE2ELNS1_3repE0EEENS1_30default_config_static_selectorELNS0_4arch9wavefront6targetE1EEEvSP_ ; -- Begin function _ZN7rocprim17ROCPRIM_400000_NS6detail17trampoline_kernelINS0_14default_configENS1_21merge_config_selectorIiNS0_10empty_typeEEEZNS1_10merge_implIS3_N6thrust23THRUST_200600_302600_NS6detail15normal_iteratorINS9_10device_ptrIKiEEEESF_NSB_INSC_IiEEEEPS5_SI_SI_NS9_4lessIiEEEE10hipError_tPvRmT0_T1_T2_T3_T4_T5_mmT6_P12ihipStream_tbEUlT_E_NS1_11comp_targetILNS1_3genE8ELNS1_11target_archE1030ELNS1_3gpuE2ELNS1_3repE0EEENS1_30default_config_static_selectorELNS0_4arch9wavefront6targetE1EEEvSP_
	.globl	_ZN7rocprim17ROCPRIM_400000_NS6detail17trampoline_kernelINS0_14default_configENS1_21merge_config_selectorIiNS0_10empty_typeEEEZNS1_10merge_implIS3_N6thrust23THRUST_200600_302600_NS6detail15normal_iteratorINS9_10device_ptrIKiEEEESF_NSB_INSC_IiEEEEPS5_SI_SI_NS9_4lessIiEEEE10hipError_tPvRmT0_T1_T2_T3_T4_T5_mmT6_P12ihipStream_tbEUlT_E_NS1_11comp_targetILNS1_3genE8ELNS1_11target_archE1030ELNS1_3gpuE2ELNS1_3repE0EEENS1_30default_config_static_selectorELNS0_4arch9wavefront6targetE1EEEvSP_
	.p2align	8
	.type	_ZN7rocprim17ROCPRIM_400000_NS6detail17trampoline_kernelINS0_14default_configENS1_21merge_config_selectorIiNS0_10empty_typeEEEZNS1_10merge_implIS3_N6thrust23THRUST_200600_302600_NS6detail15normal_iteratorINS9_10device_ptrIKiEEEESF_NSB_INSC_IiEEEEPS5_SI_SI_NS9_4lessIiEEEE10hipError_tPvRmT0_T1_T2_T3_T4_T5_mmT6_P12ihipStream_tbEUlT_E_NS1_11comp_targetILNS1_3genE8ELNS1_11target_archE1030ELNS1_3gpuE2ELNS1_3repE0EEENS1_30default_config_static_selectorELNS0_4arch9wavefront6targetE1EEEvSP_,@function
_ZN7rocprim17ROCPRIM_400000_NS6detail17trampoline_kernelINS0_14default_configENS1_21merge_config_selectorIiNS0_10empty_typeEEEZNS1_10merge_implIS3_N6thrust23THRUST_200600_302600_NS6detail15normal_iteratorINS9_10device_ptrIKiEEEESF_NSB_INSC_IiEEEEPS5_SI_SI_NS9_4lessIiEEEE10hipError_tPvRmT0_T1_T2_T3_T4_T5_mmT6_P12ihipStream_tbEUlT_E_NS1_11comp_targetILNS1_3genE8ELNS1_11target_archE1030ELNS1_3gpuE2ELNS1_3repE0EEENS1_30default_config_static_selectorELNS0_4arch9wavefront6targetE1EEEvSP_: ; @_ZN7rocprim17ROCPRIM_400000_NS6detail17trampoline_kernelINS0_14default_configENS1_21merge_config_selectorIiNS0_10empty_typeEEEZNS1_10merge_implIS3_N6thrust23THRUST_200600_302600_NS6detail15normal_iteratorINS9_10device_ptrIKiEEEESF_NSB_INSC_IiEEEEPS5_SI_SI_NS9_4lessIiEEEE10hipError_tPvRmT0_T1_T2_T3_T4_T5_mmT6_P12ihipStream_tbEUlT_E_NS1_11comp_targetILNS1_3genE8ELNS1_11target_archE1030ELNS1_3gpuE2ELNS1_3repE0EEENS1_30default_config_static_selectorELNS0_4arch9wavefront6targetE1EEEvSP_
; %bb.0:
	.section	.rodata,"a",@progbits
	.p2align	6, 0x0
	.amdhsa_kernel _ZN7rocprim17ROCPRIM_400000_NS6detail17trampoline_kernelINS0_14default_configENS1_21merge_config_selectorIiNS0_10empty_typeEEEZNS1_10merge_implIS3_N6thrust23THRUST_200600_302600_NS6detail15normal_iteratorINS9_10device_ptrIKiEEEESF_NSB_INSC_IiEEEEPS5_SI_SI_NS9_4lessIiEEEE10hipError_tPvRmT0_T1_T2_T3_T4_T5_mmT6_P12ihipStream_tbEUlT_E_NS1_11comp_targetILNS1_3genE8ELNS1_11target_archE1030ELNS1_3gpuE2ELNS1_3repE0EEENS1_30default_config_static_selectorELNS0_4arch9wavefront6targetE1EEEvSP_
		.amdhsa_group_segment_fixed_size 0
		.amdhsa_private_segment_fixed_size 0
		.amdhsa_kernarg_size 48
		.amdhsa_user_sgpr_count 6
		.amdhsa_user_sgpr_private_segment_buffer 1
		.amdhsa_user_sgpr_dispatch_ptr 0
		.amdhsa_user_sgpr_queue_ptr 0
		.amdhsa_user_sgpr_kernarg_segment_ptr 1
		.amdhsa_user_sgpr_dispatch_id 0
		.amdhsa_user_sgpr_flat_scratch_init 0
		.amdhsa_user_sgpr_kernarg_preload_length 0
		.amdhsa_user_sgpr_kernarg_preload_offset 0
		.amdhsa_user_sgpr_private_segment_size 0
		.amdhsa_uses_dynamic_stack 0
		.amdhsa_system_sgpr_private_segment_wavefront_offset 0
		.amdhsa_system_sgpr_workgroup_id_x 1
		.amdhsa_system_sgpr_workgroup_id_y 0
		.amdhsa_system_sgpr_workgroup_id_z 0
		.amdhsa_system_sgpr_workgroup_info 0
		.amdhsa_system_vgpr_workitem_id 0
		.amdhsa_next_free_vgpr 1
		.amdhsa_next_free_sgpr 0
		.amdhsa_accum_offset 4
		.amdhsa_reserve_vcc 0
		.amdhsa_reserve_flat_scratch 0
		.amdhsa_float_round_mode_32 0
		.amdhsa_float_round_mode_16_64 0
		.amdhsa_float_denorm_mode_32 3
		.amdhsa_float_denorm_mode_16_64 3
		.amdhsa_dx10_clamp 1
		.amdhsa_ieee_mode 1
		.amdhsa_fp16_overflow 0
		.amdhsa_tg_split 0
		.amdhsa_exception_fp_ieee_invalid_op 0
		.amdhsa_exception_fp_denorm_src 0
		.amdhsa_exception_fp_ieee_div_zero 0
		.amdhsa_exception_fp_ieee_overflow 0
		.amdhsa_exception_fp_ieee_underflow 0
		.amdhsa_exception_fp_ieee_inexact 0
		.amdhsa_exception_int_div_zero 0
	.end_amdhsa_kernel
	.section	.text._ZN7rocprim17ROCPRIM_400000_NS6detail17trampoline_kernelINS0_14default_configENS1_21merge_config_selectorIiNS0_10empty_typeEEEZNS1_10merge_implIS3_N6thrust23THRUST_200600_302600_NS6detail15normal_iteratorINS9_10device_ptrIKiEEEESF_NSB_INSC_IiEEEEPS5_SI_SI_NS9_4lessIiEEEE10hipError_tPvRmT0_T1_T2_T3_T4_T5_mmT6_P12ihipStream_tbEUlT_E_NS1_11comp_targetILNS1_3genE8ELNS1_11target_archE1030ELNS1_3gpuE2ELNS1_3repE0EEENS1_30default_config_static_selectorELNS0_4arch9wavefront6targetE1EEEvSP_,"axG",@progbits,_ZN7rocprim17ROCPRIM_400000_NS6detail17trampoline_kernelINS0_14default_configENS1_21merge_config_selectorIiNS0_10empty_typeEEEZNS1_10merge_implIS3_N6thrust23THRUST_200600_302600_NS6detail15normal_iteratorINS9_10device_ptrIKiEEEESF_NSB_INSC_IiEEEEPS5_SI_SI_NS9_4lessIiEEEE10hipError_tPvRmT0_T1_T2_T3_T4_T5_mmT6_P12ihipStream_tbEUlT_E_NS1_11comp_targetILNS1_3genE8ELNS1_11target_archE1030ELNS1_3gpuE2ELNS1_3repE0EEENS1_30default_config_static_selectorELNS0_4arch9wavefront6targetE1EEEvSP_,comdat
.Lfunc_end9:
	.size	_ZN7rocprim17ROCPRIM_400000_NS6detail17trampoline_kernelINS0_14default_configENS1_21merge_config_selectorIiNS0_10empty_typeEEEZNS1_10merge_implIS3_N6thrust23THRUST_200600_302600_NS6detail15normal_iteratorINS9_10device_ptrIKiEEEESF_NSB_INSC_IiEEEEPS5_SI_SI_NS9_4lessIiEEEE10hipError_tPvRmT0_T1_T2_T3_T4_T5_mmT6_P12ihipStream_tbEUlT_E_NS1_11comp_targetILNS1_3genE8ELNS1_11target_archE1030ELNS1_3gpuE2ELNS1_3repE0EEENS1_30default_config_static_selectorELNS0_4arch9wavefront6targetE1EEEvSP_, .Lfunc_end9-_ZN7rocprim17ROCPRIM_400000_NS6detail17trampoline_kernelINS0_14default_configENS1_21merge_config_selectorIiNS0_10empty_typeEEEZNS1_10merge_implIS3_N6thrust23THRUST_200600_302600_NS6detail15normal_iteratorINS9_10device_ptrIKiEEEESF_NSB_INSC_IiEEEEPS5_SI_SI_NS9_4lessIiEEEE10hipError_tPvRmT0_T1_T2_T3_T4_T5_mmT6_P12ihipStream_tbEUlT_E_NS1_11comp_targetILNS1_3genE8ELNS1_11target_archE1030ELNS1_3gpuE2ELNS1_3repE0EEENS1_30default_config_static_selectorELNS0_4arch9wavefront6targetE1EEEvSP_
                                        ; -- End function
	.section	.AMDGPU.csdata,"",@progbits
; Kernel info:
; codeLenInByte = 0
; NumSgprs: 4
; NumVgprs: 0
; NumAgprs: 0
; TotalNumVgprs: 0
; ScratchSize: 0
; MemoryBound: 0
; FloatMode: 240
; IeeeMode: 1
; LDSByteSize: 0 bytes/workgroup (compile time only)
; SGPRBlocks: 0
; VGPRBlocks: 0
; NumSGPRsForWavesPerEU: 4
; NumVGPRsForWavesPerEU: 1
; AccumOffset: 4
; Occupancy: 8
; WaveLimiterHint : 0
; COMPUTE_PGM_RSRC2:SCRATCH_EN: 0
; COMPUTE_PGM_RSRC2:USER_SGPR: 6
; COMPUTE_PGM_RSRC2:TRAP_HANDLER: 0
; COMPUTE_PGM_RSRC2:TGID_X_EN: 1
; COMPUTE_PGM_RSRC2:TGID_Y_EN: 0
; COMPUTE_PGM_RSRC2:TGID_Z_EN: 0
; COMPUTE_PGM_RSRC2:TIDIG_COMP_CNT: 0
; COMPUTE_PGM_RSRC3_GFX90A:ACCUM_OFFSET: 0
; COMPUTE_PGM_RSRC3_GFX90A:TG_SPLIT: 0
	.section	.text._ZN7rocprim17ROCPRIM_400000_NS6detail17trampoline_kernelINS0_14default_configENS1_21merge_config_selectorIiNS0_10empty_typeEEEZNS1_10merge_implIS3_N6thrust23THRUST_200600_302600_NS6detail15normal_iteratorINS9_10device_ptrIKiEEEESF_NSB_INSC_IiEEEEPS5_SI_SI_NS9_4lessIiEEEE10hipError_tPvRmT0_T1_T2_T3_T4_T5_mmT6_P12ihipStream_tbEUlT_E0_NS1_11comp_targetILNS1_3genE0ELNS1_11target_archE4294967295ELNS1_3gpuE0ELNS1_3repE0EEENS1_30default_config_static_selectorELNS0_4arch9wavefront6targetE1EEEvSP_,"axG",@progbits,_ZN7rocprim17ROCPRIM_400000_NS6detail17trampoline_kernelINS0_14default_configENS1_21merge_config_selectorIiNS0_10empty_typeEEEZNS1_10merge_implIS3_N6thrust23THRUST_200600_302600_NS6detail15normal_iteratorINS9_10device_ptrIKiEEEESF_NSB_INSC_IiEEEEPS5_SI_SI_NS9_4lessIiEEEE10hipError_tPvRmT0_T1_T2_T3_T4_T5_mmT6_P12ihipStream_tbEUlT_E0_NS1_11comp_targetILNS1_3genE0ELNS1_11target_archE4294967295ELNS1_3gpuE0ELNS1_3repE0EEENS1_30default_config_static_selectorELNS0_4arch9wavefront6targetE1EEEvSP_,comdat
	.protected	_ZN7rocprim17ROCPRIM_400000_NS6detail17trampoline_kernelINS0_14default_configENS1_21merge_config_selectorIiNS0_10empty_typeEEEZNS1_10merge_implIS3_N6thrust23THRUST_200600_302600_NS6detail15normal_iteratorINS9_10device_ptrIKiEEEESF_NSB_INSC_IiEEEEPS5_SI_SI_NS9_4lessIiEEEE10hipError_tPvRmT0_T1_T2_T3_T4_T5_mmT6_P12ihipStream_tbEUlT_E0_NS1_11comp_targetILNS1_3genE0ELNS1_11target_archE4294967295ELNS1_3gpuE0ELNS1_3repE0EEENS1_30default_config_static_selectorELNS0_4arch9wavefront6targetE1EEEvSP_ ; -- Begin function _ZN7rocprim17ROCPRIM_400000_NS6detail17trampoline_kernelINS0_14default_configENS1_21merge_config_selectorIiNS0_10empty_typeEEEZNS1_10merge_implIS3_N6thrust23THRUST_200600_302600_NS6detail15normal_iteratorINS9_10device_ptrIKiEEEESF_NSB_INSC_IiEEEEPS5_SI_SI_NS9_4lessIiEEEE10hipError_tPvRmT0_T1_T2_T3_T4_T5_mmT6_P12ihipStream_tbEUlT_E0_NS1_11comp_targetILNS1_3genE0ELNS1_11target_archE4294967295ELNS1_3gpuE0ELNS1_3repE0EEENS1_30default_config_static_selectorELNS0_4arch9wavefront6targetE1EEEvSP_
	.globl	_ZN7rocprim17ROCPRIM_400000_NS6detail17trampoline_kernelINS0_14default_configENS1_21merge_config_selectorIiNS0_10empty_typeEEEZNS1_10merge_implIS3_N6thrust23THRUST_200600_302600_NS6detail15normal_iteratorINS9_10device_ptrIKiEEEESF_NSB_INSC_IiEEEEPS5_SI_SI_NS9_4lessIiEEEE10hipError_tPvRmT0_T1_T2_T3_T4_T5_mmT6_P12ihipStream_tbEUlT_E0_NS1_11comp_targetILNS1_3genE0ELNS1_11target_archE4294967295ELNS1_3gpuE0ELNS1_3repE0EEENS1_30default_config_static_selectorELNS0_4arch9wavefront6targetE1EEEvSP_
	.p2align	8
	.type	_ZN7rocprim17ROCPRIM_400000_NS6detail17trampoline_kernelINS0_14default_configENS1_21merge_config_selectorIiNS0_10empty_typeEEEZNS1_10merge_implIS3_N6thrust23THRUST_200600_302600_NS6detail15normal_iteratorINS9_10device_ptrIKiEEEESF_NSB_INSC_IiEEEEPS5_SI_SI_NS9_4lessIiEEEE10hipError_tPvRmT0_T1_T2_T3_T4_T5_mmT6_P12ihipStream_tbEUlT_E0_NS1_11comp_targetILNS1_3genE0ELNS1_11target_archE4294967295ELNS1_3gpuE0ELNS1_3repE0EEENS1_30default_config_static_selectorELNS0_4arch9wavefront6targetE1EEEvSP_,@function
_ZN7rocprim17ROCPRIM_400000_NS6detail17trampoline_kernelINS0_14default_configENS1_21merge_config_selectorIiNS0_10empty_typeEEEZNS1_10merge_implIS3_N6thrust23THRUST_200600_302600_NS6detail15normal_iteratorINS9_10device_ptrIKiEEEESF_NSB_INSC_IiEEEEPS5_SI_SI_NS9_4lessIiEEEE10hipError_tPvRmT0_T1_T2_T3_T4_T5_mmT6_P12ihipStream_tbEUlT_E0_NS1_11comp_targetILNS1_3genE0ELNS1_11target_archE4294967295ELNS1_3gpuE0ELNS1_3repE0EEENS1_30default_config_static_selectorELNS0_4arch9wavefront6targetE1EEEvSP_: ; @_ZN7rocprim17ROCPRIM_400000_NS6detail17trampoline_kernelINS0_14default_configENS1_21merge_config_selectorIiNS0_10empty_typeEEEZNS1_10merge_implIS3_N6thrust23THRUST_200600_302600_NS6detail15normal_iteratorINS9_10device_ptrIKiEEEESF_NSB_INSC_IiEEEEPS5_SI_SI_NS9_4lessIiEEEE10hipError_tPvRmT0_T1_T2_T3_T4_T5_mmT6_P12ihipStream_tbEUlT_E0_NS1_11comp_targetILNS1_3genE0ELNS1_11target_archE4294967295ELNS1_3gpuE0ELNS1_3repE0EEENS1_30default_config_static_selectorELNS0_4arch9wavefront6targetE1EEEvSP_
; %bb.0:
	.section	.rodata,"a",@progbits
	.p2align	6, 0x0
	.amdhsa_kernel _ZN7rocprim17ROCPRIM_400000_NS6detail17trampoline_kernelINS0_14default_configENS1_21merge_config_selectorIiNS0_10empty_typeEEEZNS1_10merge_implIS3_N6thrust23THRUST_200600_302600_NS6detail15normal_iteratorINS9_10device_ptrIKiEEEESF_NSB_INSC_IiEEEEPS5_SI_SI_NS9_4lessIiEEEE10hipError_tPvRmT0_T1_T2_T3_T4_T5_mmT6_P12ihipStream_tbEUlT_E0_NS1_11comp_targetILNS1_3genE0ELNS1_11target_archE4294967295ELNS1_3gpuE0ELNS1_3repE0EEENS1_30default_config_static_selectorELNS0_4arch9wavefront6targetE1EEEvSP_
		.amdhsa_group_segment_fixed_size 0
		.amdhsa_private_segment_fixed_size 0
		.amdhsa_kernarg_size 88
		.amdhsa_user_sgpr_count 6
		.amdhsa_user_sgpr_private_segment_buffer 1
		.amdhsa_user_sgpr_dispatch_ptr 0
		.amdhsa_user_sgpr_queue_ptr 0
		.amdhsa_user_sgpr_kernarg_segment_ptr 1
		.amdhsa_user_sgpr_dispatch_id 0
		.amdhsa_user_sgpr_flat_scratch_init 0
		.amdhsa_user_sgpr_kernarg_preload_length 0
		.amdhsa_user_sgpr_kernarg_preload_offset 0
		.amdhsa_user_sgpr_private_segment_size 0
		.amdhsa_uses_dynamic_stack 0
		.amdhsa_system_sgpr_private_segment_wavefront_offset 0
		.amdhsa_system_sgpr_workgroup_id_x 1
		.amdhsa_system_sgpr_workgroup_id_y 0
		.amdhsa_system_sgpr_workgroup_id_z 0
		.amdhsa_system_sgpr_workgroup_info 0
		.amdhsa_system_vgpr_workitem_id 0
		.amdhsa_next_free_vgpr 1
		.amdhsa_next_free_sgpr 0
		.amdhsa_accum_offset 4
		.amdhsa_reserve_vcc 0
		.amdhsa_reserve_flat_scratch 0
		.amdhsa_float_round_mode_32 0
		.amdhsa_float_round_mode_16_64 0
		.amdhsa_float_denorm_mode_32 3
		.amdhsa_float_denorm_mode_16_64 3
		.amdhsa_dx10_clamp 1
		.amdhsa_ieee_mode 1
		.amdhsa_fp16_overflow 0
		.amdhsa_tg_split 0
		.amdhsa_exception_fp_ieee_invalid_op 0
		.amdhsa_exception_fp_denorm_src 0
		.amdhsa_exception_fp_ieee_div_zero 0
		.amdhsa_exception_fp_ieee_overflow 0
		.amdhsa_exception_fp_ieee_underflow 0
		.amdhsa_exception_fp_ieee_inexact 0
		.amdhsa_exception_int_div_zero 0
	.end_amdhsa_kernel
	.section	.text._ZN7rocprim17ROCPRIM_400000_NS6detail17trampoline_kernelINS0_14default_configENS1_21merge_config_selectorIiNS0_10empty_typeEEEZNS1_10merge_implIS3_N6thrust23THRUST_200600_302600_NS6detail15normal_iteratorINS9_10device_ptrIKiEEEESF_NSB_INSC_IiEEEEPS5_SI_SI_NS9_4lessIiEEEE10hipError_tPvRmT0_T1_T2_T3_T4_T5_mmT6_P12ihipStream_tbEUlT_E0_NS1_11comp_targetILNS1_3genE0ELNS1_11target_archE4294967295ELNS1_3gpuE0ELNS1_3repE0EEENS1_30default_config_static_selectorELNS0_4arch9wavefront6targetE1EEEvSP_,"axG",@progbits,_ZN7rocprim17ROCPRIM_400000_NS6detail17trampoline_kernelINS0_14default_configENS1_21merge_config_selectorIiNS0_10empty_typeEEEZNS1_10merge_implIS3_N6thrust23THRUST_200600_302600_NS6detail15normal_iteratorINS9_10device_ptrIKiEEEESF_NSB_INSC_IiEEEEPS5_SI_SI_NS9_4lessIiEEEE10hipError_tPvRmT0_T1_T2_T3_T4_T5_mmT6_P12ihipStream_tbEUlT_E0_NS1_11comp_targetILNS1_3genE0ELNS1_11target_archE4294967295ELNS1_3gpuE0ELNS1_3repE0EEENS1_30default_config_static_selectorELNS0_4arch9wavefront6targetE1EEEvSP_,comdat
.Lfunc_end10:
	.size	_ZN7rocprim17ROCPRIM_400000_NS6detail17trampoline_kernelINS0_14default_configENS1_21merge_config_selectorIiNS0_10empty_typeEEEZNS1_10merge_implIS3_N6thrust23THRUST_200600_302600_NS6detail15normal_iteratorINS9_10device_ptrIKiEEEESF_NSB_INSC_IiEEEEPS5_SI_SI_NS9_4lessIiEEEE10hipError_tPvRmT0_T1_T2_T3_T4_T5_mmT6_P12ihipStream_tbEUlT_E0_NS1_11comp_targetILNS1_3genE0ELNS1_11target_archE4294967295ELNS1_3gpuE0ELNS1_3repE0EEENS1_30default_config_static_selectorELNS0_4arch9wavefront6targetE1EEEvSP_, .Lfunc_end10-_ZN7rocprim17ROCPRIM_400000_NS6detail17trampoline_kernelINS0_14default_configENS1_21merge_config_selectorIiNS0_10empty_typeEEEZNS1_10merge_implIS3_N6thrust23THRUST_200600_302600_NS6detail15normal_iteratorINS9_10device_ptrIKiEEEESF_NSB_INSC_IiEEEEPS5_SI_SI_NS9_4lessIiEEEE10hipError_tPvRmT0_T1_T2_T3_T4_T5_mmT6_P12ihipStream_tbEUlT_E0_NS1_11comp_targetILNS1_3genE0ELNS1_11target_archE4294967295ELNS1_3gpuE0ELNS1_3repE0EEENS1_30default_config_static_selectorELNS0_4arch9wavefront6targetE1EEEvSP_
                                        ; -- End function
	.section	.AMDGPU.csdata,"",@progbits
; Kernel info:
; codeLenInByte = 0
; NumSgprs: 4
; NumVgprs: 0
; NumAgprs: 0
; TotalNumVgprs: 0
; ScratchSize: 0
; MemoryBound: 0
; FloatMode: 240
; IeeeMode: 1
; LDSByteSize: 0 bytes/workgroup (compile time only)
; SGPRBlocks: 0
; VGPRBlocks: 0
; NumSGPRsForWavesPerEU: 4
; NumVGPRsForWavesPerEU: 1
; AccumOffset: 4
; Occupancy: 8
; WaveLimiterHint : 0
; COMPUTE_PGM_RSRC2:SCRATCH_EN: 0
; COMPUTE_PGM_RSRC2:USER_SGPR: 6
; COMPUTE_PGM_RSRC2:TRAP_HANDLER: 0
; COMPUTE_PGM_RSRC2:TGID_X_EN: 1
; COMPUTE_PGM_RSRC2:TGID_Y_EN: 0
; COMPUTE_PGM_RSRC2:TGID_Z_EN: 0
; COMPUTE_PGM_RSRC2:TIDIG_COMP_CNT: 0
; COMPUTE_PGM_RSRC3_GFX90A:ACCUM_OFFSET: 0
; COMPUTE_PGM_RSRC3_GFX90A:TG_SPLIT: 0
	.section	.text._ZN7rocprim17ROCPRIM_400000_NS6detail17trampoline_kernelINS0_14default_configENS1_21merge_config_selectorIiNS0_10empty_typeEEEZNS1_10merge_implIS3_N6thrust23THRUST_200600_302600_NS6detail15normal_iteratorINS9_10device_ptrIKiEEEESF_NSB_INSC_IiEEEEPS5_SI_SI_NS9_4lessIiEEEE10hipError_tPvRmT0_T1_T2_T3_T4_T5_mmT6_P12ihipStream_tbEUlT_E0_NS1_11comp_targetILNS1_3genE5ELNS1_11target_archE942ELNS1_3gpuE9ELNS1_3repE0EEENS1_30default_config_static_selectorELNS0_4arch9wavefront6targetE1EEEvSP_,"axG",@progbits,_ZN7rocprim17ROCPRIM_400000_NS6detail17trampoline_kernelINS0_14default_configENS1_21merge_config_selectorIiNS0_10empty_typeEEEZNS1_10merge_implIS3_N6thrust23THRUST_200600_302600_NS6detail15normal_iteratorINS9_10device_ptrIKiEEEESF_NSB_INSC_IiEEEEPS5_SI_SI_NS9_4lessIiEEEE10hipError_tPvRmT0_T1_T2_T3_T4_T5_mmT6_P12ihipStream_tbEUlT_E0_NS1_11comp_targetILNS1_3genE5ELNS1_11target_archE942ELNS1_3gpuE9ELNS1_3repE0EEENS1_30default_config_static_selectorELNS0_4arch9wavefront6targetE1EEEvSP_,comdat
	.protected	_ZN7rocprim17ROCPRIM_400000_NS6detail17trampoline_kernelINS0_14default_configENS1_21merge_config_selectorIiNS0_10empty_typeEEEZNS1_10merge_implIS3_N6thrust23THRUST_200600_302600_NS6detail15normal_iteratorINS9_10device_ptrIKiEEEESF_NSB_INSC_IiEEEEPS5_SI_SI_NS9_4lessIiEEEE10hipError_tPvRmT0_T1_T2_T3_T4_T5_mmT6_P12ihipStream_tbEUlT_E0_NS1_11comp_targetILNS1_3genE5ELNS1_11target_archE942ELNS1_3gpuE9ELNS1_3repE0EEENS1_30default_config_static_selectorELNS0_4arch9wavefront6targetE1EEEvSP_ ; -- Begin function _ZN7rocprim17ROCPRIM_400000_NS6detail17trampoline_kernelINS0_14default_configENS1_21merge_config_selectorIiNS0_10empty_typeEEEZNS1_10merge_implIS3_N6thrust23THRUST_200600_302600_NS6detail15normal_iteratorINS9_10device_ptrIKiEEEESF_NSB_INSC_IiEEEEPS5_SI_SI_NS9_4lessIiEEEE10hipError_tPvRmT0_T1_T2_T3_T4_T5_mmT6_P12ihipStream_tbEUlT_E0_NS1_11comp_targetILNS1_3genE5ELNS1_11target_archE942ELNS1_3gpuE9ELNS1_3repE0EEENS1_30default_config_static_selectorELNS0_4arch9wavefront6targetE1EEEvSP_
	.globl	_ZN7rocprim17ROCPRIM_400000_NS6detail17trampoline_kernelINS0_14default_configENS1_21merge_config_selectorIiNS0_10empty_typeEEEZNS1_10merge_implIS3_N6thrust23THRUST_200600_302600_NS6detail15normal_iteratorINS9_10device_ptrIKiEEEESF_NSB_INSC_IiEEEEPS5_SI_SI_NS9_4lessIiEEEE10hipError_tPvRmT0_T1_T2_T3_T4_T5_mmT6_P12ihipStream_tbEUlT_E0_NS1_11comp_targetILNS1_3genE5ELNS1_11target_archE942ELNS1_3gpuE9ELNS1_3repE0EEENS1_30default_config_static_selectorELNS0_4arch9wavefront6targetE1EEEvSP_
	.p2align	8
	.type	_ZN7rocprim17ROCPRIM_400000_NS6detail17trampoline_kernelINS0_14default_configENS1_21merge_config_selectorIiNS0_10empty_typeEEEZNS1_10merge_implIS3_N6thrust23THRUST_200600_302600_NS6detail15normal_iteratorINS9_10device_ptrIKiEEEESF_NSB_INSC_IiEEEEPS5_SI_SI_NS9_4lessIiEEEE10hipError_tPvRmT0_T1_T2_T3_T4_T5_mmT6_P12ihipStream_tbEUlT_E0_NS1_11comp_targetILNS1_3genE5ELNS1_11target_archE942ELNS1_3gpuE9ELNS1_3repE0EEENS1_30default_config_static_selectorELNS0_4arch9wavefront6targetE1EEEvSP_,@function
_ZN7rocprim17ROCPRIM_400000_NS6detail17trampoline_kernelINS0_14default_configENS1_21merge_config_selectorIiNS0_10empty_typeEEEZNS1_10merge_implIS3_N6thrust23THRUST_200600_302600_NS6detail15normal_iteratorINS9_10device_ptrIKiEEEESF_NSB_INSC_IiEEEEPS5_SI_SI_NS9_4lessIiEEEE10hipError_tPvRmT0_T1_T2_T3_T4_T5_mmT6_P12ihipStream_tbEUlT_E0_NS1_11comp_targetILNS1_3genE5ELNS1_11target_archE942ELNS1_3gpuE9ELNS1_3repE0EEENS1_30default_config_static_selectorELNS0_4arch9wavefront6targetE1EEEvSP_: ; @_ZN7rocprim17ROCPRIM_400000_NS6detail17trampoline_kernelINS0_14default_configENS1_21merge_config_selectorIiNS0_10empty_typeEEEZNS1_10merge_implIS3_N6thrust23THRUST_200600_302600_NS6detail15normal_iteratorINS9_10device_ptrIKiEEEESF_NSB_INSC_IiEEEEPS5_SI_SI_NS9_4lessIiEEEE10hipError_tPvRmT0_T1_T2_T3_T4_T5_mmT6_P12ihipStream_tbEUlT_E0_NS1_11comp_targetILNS1_3genE5ELNS1_11target_archE942ELNS1_3gpuE9ELNS1_3repE0EEENS1_30default_config_static_selectorELNS0_4arch9wavefront6targetE1EEEvSP_
; %bb.0:
	.section	.rodata,"a",@progbits
	.p2align	6, 0x0
	.amdhsa_kernel _ZN7rocprim17ROCPRIM_400000_NS6detail17trampoline_kernelINS0_14default_configENS1_21merge_config_selectorIiNS0_10empty_typeEEEZNS1_10merge_implIS3_N6thrust23THRUST_200600_302600_NS6detail15normal_iteratorINS9_10device_ptrIKiEEEESF_NSB_INSC_IiEEEEPS5_SI_SI_NS9_4lessIiEEEE10hipError_tPvRmT0_T1_T2_T3_T4_T5_mmT6_P12ihipStream_tbEUlT_E0_NS1_11comp_targetILNS1_3genE5ELNS1_11target_archE942ELNS1_3gpuE9ELNS1_3repE0EEENS1_30default_config_static_selectorELNS0_4arch9wavefront6targetE1EEEvSP_
		.amdhsa_group_segment_fixed_size 0
		.amdhsa_private_segment_fixed_size 0
		.amdhsa_kernarg_size 88
		.amdhsa_user_sgpr_count 6
		.amdhsa_user_sgpr_private_segment_buffer 1
		.amdhsa_user_sgpr_dispatch_ptr 0
		.amdhsa_user_sgpr_queue_ptr 0
		.amdhsa_user_sgpr_kernarg_segment_ptr 1
		.amdhsa_user_sgpr_dispatch_id 0
		.amdhsa_user_sgpr_flat_scratch_init 0
		.amdhsa_user_sgpr_kernarg_preload_length 0
		.amdhsa_user_sgpr_kernarg_preload_offset 0
		.amdhsa_user_sgpr_private_segment_size 0
		.amdhsa_uses_dynamic_stack 0
		.amdhsa_system_sgpr_private_segment_wavefront_offset 0
		.amdhsa_system_sgpr_workgroup_id_x 1
		.amdhsa_system_sgpr_workgroup_id_y 0
		.amdhsa_system_sgpr_workgroup_id_z 0
		.amdhsa_system_sgpr_workgroup_info 0
		.amdhsa_system_vgpr_workitem_id 0
		.amdhsa_next_free_vgpr 1
		.amdhsa_next_free_sgpr 0
		.amdhsa_accum_offset 4
		.amdhsa_reserve_vcc 0
		.amdhsa_reserve_flat_scratch 0
		.amdhsa_float_round_mode_32 0
		.amdhsa_float_round_mode_16_64 0
		.amdhsa_float_denorm_mode_32 3
		.amdhsa_float_denorm_mode_16_64 3
		.amdhsa_dx10_clamp 1
		.amdhsa_ieee_mode 1
		.amdhsa_fp16_overflow 0
		.amdhsa_tg_split 0
		.amdhsa_exception_fp_ieee_invalid_op 0
		.amdhsa_exception_fp_denorm_src 0
		.amdhsa_exception_fp_ieee_div_zero 0
		.amdhsa_exception_fp_ieee_overflow 0
		.amdhsa_exception_fp_ieee_underflow 0
		.amdhsa_exception_fp_ieee_inexact 0
		.amdhsa_exception_int_div_zero 0
	.end_amdhsa_kernel
	.section	.text._ZN7rocprim17ROCPRIM_400000_NS6detail17trampoline_kernelINS0_14default_configENS1_21merge_config_selectorIiNS0_10empty_typeEEEZNS1_10merge_implIS3_N6thrust23THRUST_200600_302600_NS6detail15normal_iteratorINS9_10device_ptrIKiEEEESF_NSB_INSC_IiEEEEPS5_SI_SI_NS9_4lessIiEEEE10hipError_tPvRmT0_T1_T2_T3_T4_T5_mmT6_P12ihipStream_tbEUlT_E0_NS1_11comp_targetILNS1_3genE5ELNS1_11target_archE942ELNS1_3gpuE9ELNS1_3repE0EEENS1_30default_config_static_selectorELNS0_4arch9wavefront6targetE1EEEvSP_,"axG",@progbits,_ZN7rocprim17ROCPRIM_400000_NS6detail17trampoline_kernelINS0_14default_configENS1_21merge_config_selectorIiNS0_10empty_typeEEEZNS1_10merge_implIS3_N6thrust23THRUST_200600_302600_NS6detail15normal_iteratorINS9_10device_ptrIKiEEEESF_NSB_INSC_IiEEEEPS5_SI_SI_NS9_4lessIiEEEE10hipError_tPvRmT0_T1_T2_T3_T4_T5_mmT6_P12ihipStream_tbEUlT_E0_NS1_11comp_targetILNS1_3genE5ELNS1_11target_archE942ELNS1_3gpuE9ELNS1_3repE0EEENS1_30default_config_static_selectorELNS0_4arch9wavefront6targetE1EEEvSP_,comdat
.Lfunc_end11:
	.size	_ZN7rocprim17ROCPRIM_400000_NS6detail17trampoline_kernelINS0_14default_configENS1_21merge_config_selectorIiNS0_10empty_typeEEEZNS1_10merge_implIS3_N6thrust23THRUST_200600_302600_NS6detail15normal_iteratorINS9_10device_ptrIKiEEEESF_NSB_INSC_IiEEEEPS5_SI_SI_NS9_4lessIiEEEE10hipError_tPvRmT0_T1_T2_T3_T4_T5_mmT6_P12ihipStream_tbEUlT_E0_NS1_11comp_targetILNS1_3genE5ELNS1_11target_archE942ELNS1_3gpuE9ELNS1_3repE0EEENS1_30default_config_static_selectorELNS0_4arch9wavefront6targetE1EEEvSP_, .Lfunc_end11-_ZN7rocprim17ROCPRIM_400000_NS6detail17trampoline_kernelINS0_14default_configENS1_21merge_config_selectorIiNS0_10empty_typeEEEZNS1_10merge_implIS3_N6thrust23THRUST_200600_302600_NS6detail15normal_iteratorINS9_10device_ptrIKiEEEESF_NSB_INSC_IiEEEEPS5_SI_SI_NS9_4lessIiEEEE10hipError_tPvRmT0_T1_T2_T3_T4_T5_mmT6_P12ihipStream_tbEUlT_E0_NS1_11comp_targetILNS1_3genE5ELNS1_11target_archE942ELNS1_3gpuE9ELNS1_3repE0EEENS1_30default_config_static_selectorELNS0_4arch9wavefront6targetE1EEEvSP_
                                        ; -- End function
	.section	.AMDGPU.csdata,"",@progbits
; Kernel info:
; codeLenInByte = 0
; NumSgprs: 4
; NumVgprs: 0
; NumAgprs: 0
; TotalNumVgprs: 0
; ScratchSize: 0
; MemoryBound: 0
; FloatMode: 240
; IeeeMode: 1
; LDSByteSize: 0 bytes/workgroup (compile time only)
; SGPRBlocks: 0
; VGPRBlocks: 0
; NumSGPRsForWavesPerEU: 4
; NumVGPRsForWavesPerEU: 1
; AccumOffset: 4
; Occupancy: 8
; WaveLimiterHint : 0
; COMPUTE_PGM_RSRC2:SCRATCH_EN: 0
; COMPUTE_PGM_RSRC2:USER_SGPR: 6
; COMPUTE_PGM_RSRC2:TRAP_HANDLER: 0
; COMPUTE_PGM_RSRC2:TGID_X_EN: 1
; COMPUTE_PGM_RSRC2:TGID_Y_EN: 0
; COMPUTE_PGM_RSRC2:TGID_Z_EN: 0
; COMPUTE_PGM_RSRC2:TIDIG_COMP_CNT: 0
; COMPUTE_PGM_RSRC3_GFX90A:ACCUM_OFFSET: 0
; COMPUTE_PGM_RSRC3_GFX90A:TG_SPLIT: 0
	.section	.text._ZN7rocprim17ROCPRIM_400000_NS6detail17trampoline_kernelINS0_14default_configENS1_21merge_config_selectorIiNS0_10empty_typeEEEZNS1_10merge_implIS3_N6thrust23THRUST_200600_302600_NS6detail15normal_iteratorINS9_10device_ptrIKiEEEESF_NSB_INSC_IiEEEEPS5_SI_SI_NS9_4lessIiEEEE10hipError_tPvRmT0_T1_T2_T3_T4_T5_mmT6_P12ihipStream_tbEUlT_E0_NS1_11comp_targetILNS1_3genE4ELNS1_11target_archE910ELNS1_3gpuE8ELNS1_3repE0EEENS1_30default_config_static_selectorELNS0_4arch9wavefront6targetE1EEEvSP_,"axG",@progbits,_ZN7rocprim17ROCPRIM_400000_NS6detail17trampoline_kernelINS0_14default_configENS1_21merge_config_selectorIiNS0_10empty_typeEEEZNS1_10merge_implIS3_N6thrust23THRUST_200600_302600_NS6detail15normal_iteratorINS9_10device_ptrIKiEEEESF_NSB_INSC_IiEEEEPS5_SI_SI_NS9_4lessIiEEEE10hipError_tPvRmT0_T1_T2_T3_T4_T5_mmT6_P12ihipStream_tbEUlT_E0_NS1_11comp_targetILNS1_3genE4ELNS1_11target_archE910ELNS1_3gpuE8ELNS1_3repE0EEENS1_30default_config_static_selectorELNS0_4arch9wavefront6targetE1EEEvSP_,comdat
	.protected	_ZN7rocprim17ROCPRIM_400000_NS6detail17trampoline_kernelINS0_14default_configENS1_21merge_config_selectorIiNS0_10empty_typeEEEZNS1_10merge_implIS3_N6thrust23THRUST_200600_302600_NS6detail15normal_iteratorINS9_10device_ptrIKiEEEESF_NSB_INSC_IiEEEEPS5_SI_SI_NS9_4lessIiEEEE10hipError_tPvRmT0_T1_T2_T3_T4_T5_mmT6_P12ihipStream_tbEUlT_E0_NS1_11comp_targetILNS1_3genE4ELNS1_11target_archE910ELNS1_3gpuE8ELNS1_3repE0EEENS1_30default_config_static_selectorELNS0_4arch9wavefront6targetE1EEEvSP_ ; -- Begin function _ZN7rocprim17ROCPRIM_400000_NS6detail17trampoline_kernelINS0_14default_configENS1_21merge_config_selectorIiNS0_10empty_typeEEEZNS1_10merge_implIS3_N6thrust23THRUST_200600_302600_NS6detail15normal_iteratorINS9_10device_ptrIKiEEEESF_NSB_INSC_IiEEEEPS5_SI_SI_NS9_4lessIiEEEE10hipError_tPvRmT0_T1_T2_T3_T4_T5_mmT6_P12ihipStream_tbEUlT_E0_NS1_11comp_targetILNS1_3genE4ELNS1_11target_archE910ELNS1_3gpuE8ELNS1_3repE0EEENS1_30default_config_static_selectorELNS0_4arch9wavefront6targetE1EEEvSP_
	.globl	_ZN7rocprim17ROCPRIM_400000_NS6detail17trampoline_kernelINS0_14default_configENS1_21merge_config_selectorIiNS0_10empty_typeEEEZNS1_10merge_implIS3_N6thrust23THRUST_200600_302600_NS6detail15normal_iteratorINS9_10device_ptrIKiEEEESF_NSB_INSC_IiEEEEPS5_SI_SI_NS9_4lessIiEEEE10hipError_tPvRmT0_T1_T2_T3_T4_T5_mmT6_P12ihipStream_tbEUlT_E0_NS1_11comp_targetILNS1_3genE4ELNS1_11target_archE910ELNS1_3gpuE8ELNS1_3repE0EEENS1_30default_config_static_selectorELNS0_4arch9wavefront6targetE1EEEvSP_
	.p2align	8
	.type	_ZN7rocprim17ROCPRIM_400000_NS6detail17trampoline_kernelINS0_14default_configENS1_21merge_config_selectorIiNS0_10empty_typeEEEZNS1_10merge_implIS3_N6thrust23THRUST_200600_302600_NS6detail15normal_iteratorINS9_10device_ptrIKiEEEESF_NSB_INSC_IiEEEEPS5_SI_SI_NS9_4lessIiEEEE10hipError_tPvRmT0_T1_T2_T3_T4_T5_mmT6_P12ihipStream_tbEUlT_E0_NS1_11comp_targetILNS1_3genE4ELNS1_11target_archE910ELNS1_3gpuE8ELNS1_3repE0EEENS1_30default_config_static_selectorELNS0_4arch9wavefront6targetE1EEEvSP_,@function
_ZN7rocprim17ROCPRIM_400000_NS6detail17trampoline_kernelINS0_14default_configENS1_21merge_config_selectorIiNS0_10empty_typeEEEZNS1_10merge_implIS3_N6thrust23THRUST_200600_302600_NS6detail15normal_iteratorINS9_10device_ptrIKiEEEESF_NSB_INSC_IiEEEEPS5_SI_SI_NS9_4lessIiEEEE10hipError_tPvRmT0_T1_T2_T3_T4_T5_mmT6_P12ihipStream_tbEUlT_E0_NS1_11comp_targetILNS1_3genE4ELNS1_11target_archE910ELNS1_3gpuE8ELNS1_3repE0EEENS1_30default_config_static_selectorELNS0_4arch9wavefront6targetE1EEEvSP_: ; @_ZN7rocprim17ROCPRIM_400000_NS6detail17trampoline_kernelINS0_14default_configENS1_21merge_config_selectorIiNS0_10empty_typeEEEZNS1_10merge_implIS3_N6thrust23THRUST_200600_302600_NS6detail15normal_iteratorINS9_10device_ptrIKiEEEESF_NSB_INSC_IiEEEEPS5_SI_SI_NS9_4lessIiEEEE10hipError_tPvRmT0_T1_T2_T3_T4_T5_mmT6_P12ihipStream_tbEUlT_E0_NS1_11comp_targetILNS1_3genE4ELNS1_11target_archE910ELNS1_3gpuE8ELNS1_3repE0EEENS1_30default_config_static_selectorELNS0_4arch9wavefront6targetE1EEEvSP_
; %bb.0:
	s_load_dwordx4 s[0:3], s[4:5], 0x40
	s_load_dwordx8 s[12:19], s[4:5], 0x8
	s_mul_i32 s20, s6, 0xa00
	s_mov_b32 s23, 0
	s_waitcnt lgkmcnt(0)
	s_mov_b32 s3, s23
	s_add_i32 s21, s2, s0
	s_add_i32 s0, s21, 0x9ff
	s_mul_hi_u32 s0, s0, 0xcccccccd
	s_lshr_b32 s0, s0, 11
	s_min_u32 s1, s6, s0
	s_lshl_b32 s1, s1, 2
	s_load_dword s22, s[12:13], s1 offset:0x0
	s_add_i32 s6, s6, 1
	s_min_u32 s0, s6, s0
	s_lshl_b32 s0, s0, 2
	s_load_dword s6, s[12:13], s0 offset:0x0
	s_add_i32 s0, s20, 0xa00
	s_min_u32 s7, s21, s0
	s_waitcnt lgkmcnt(0)
	s_sub_i32 s2, s20, s22
	s_lshl_b64 s[0:1], s[22:23], 2
	s_add_u32 s0, s14, s0
	s_addc_u32 s1, s15, s1
	s_lshl_b64 s[4:5], s[2:3], 2
	s_add_u32 s9, s16, s4
	s_addc_u32 s10, s17, s5
	s_add_i32 s2, s2, s6
	s_sub_i32 s22, s6, s22
	s_sub_i32 s8, s7, s2
	s_add_u32 s2, s8, s22
	s_addc_u32 s3, 0, 0
	v_mov_b32_e32 v1, 0
	v_cmp_le_u32_e32 vcc, s22, v0
	s_and_saveexec_b64 s[4:5], vcc
	s_xor_b64 s[4:5], exec, s[4:5]
	s_cbranch_execz .LBB12_4
; %bb.1:
	v_cmp_gt_u64_e32 vcc, s[2:3], v[0:1]
	s_and_saveexec_b64 s[6:7], vcc
	s_cbranch_execz .LBB12_3
; %bb.2:
	v_mov_b32_e32 v1, s23
	v_subrev_co_u32_e32 v2, vcc, s22, v0
	v_subb_co_u32_e32 v3, vcc, 0, v1, vcc
	v_lshlrev_b64 v[2:3], 2, v[2:3]
	v_mov_b32_e32 v1, s10
	v_add_co_u32_e32 v2, vcc, s9, v2
	v_addc_co_u32_e32 v3, vcc, v1, v3, vcc
	global_load_dword v1, v[2:3], off
	v_lshlrev_b32_e32 v2, 2, v0
	s_waitcnt vmcnt(0)
	ds_write_b32 v2, v1
.LBB12_3:
	s_or_b64 exec, exec, s[6:7]
.LBB12_4:
	s_or_saveexec_b64 s[4:5], s[4:5]
	v_lshlrev_b32_e32 v1, 2, v0
	s_xor_b64 exec, exec, s[4:5]
	s_cbranch_execz .LBB12_6
; %bb.5:
	global_load_dword v2, v1, s[0:1]
	s_waitcnt vmcnt(0)
	ds_write_b32 v1, v2
.LBB12_6:
	s_or_b64 exec, exec, s[4:5]
	v_or_b32_e32 v10, 0x100, v0
	v_mov_b32_e32 v11, 0
	v_cmp_le_u32_e32 vcc, s22, v10
	s_and_saveexec_b64 s[4:5], vcc
	s_xor_b64 s[4:5], exec, s[4:5]
	s_cbranch_execz .LBB12_10
; %bb.7:
	v_cmp_gt_u64_e32 vcc, s[2:3], v[10:11]
	s_and_saveexec_b64 s[6:7], vcc
	s_cbranch_execz .LBB12_9
; %bb.8:
	v_mov_b32_e32 v3, s23
	v_subrev_co_u32_e32 v2, vcc, s22, v0
	v_subb_co_u32_e32 v3, vcc, 0, v3, vcc
	v_lshlrev_b64 v[2:3], 2, v[2:3]
	v_mov_b32_e32 v4, s10
	v_add_co_u32_e32 v2, vcc, s9, v2
	v_addc_co_u32_e32 v3, vcc, v4, v3, vcc
	global_load_dword v2, v[2:3], off offset:1024
	s_waitcnt vmcnt(0)
	ds_write_b32 v1, v2 offset:1024
.LBB12_9:
	s_or_b64 exec, exec, s[6:7]
.LBB12_10:
	s_andn2_saveexec_b64 s[4:5], s[4:5]
	s_cbranch_execz .LBB12_12
; %bb.11:
	global_load_dword v2, v1, s[0:1] offset:1024
	s_waitcnt vmcnt(0)
	ds_write_b32 v1, v2 offset:1024
.LBB12_12:
	s_or_b64 exec, exec, s[4:5]
	v_or_b32_e32 v12, 0x200, v0
	v_mov_b32_e32 v13, 0
	v_cmp_le_u32_e32 vcc, s22, v12
	s_and_saveexec_b64 s[4:5], vcc
	s_xor_b64 s[4:5], exec, s[4:5]
	s_cbranch_execz .LBB12_16
; %bb.13:
	v_cmp_gt_u64_e32 vcc, s[2:3], v[12:13]
	s_and_saveexec_b64 s[6:7], vcc
	s_cbranch_execz .LBB12_15
; %bb.14:
	v_mov_b32_e32 v3, s23
	v_subrev_co_u32_e32 v2, vcc, s22, v0
	v_subb_co_u32_e32 v3, vcc, 0, v3, vcc
	v_lshlrev_b64 v[2:3], 2, v[2:3]
	v_mov_b32_e32 v4, s10
	v_add_co_u32_e32 v2, vcc, s9, v2
	v_addc_co_u32_e32 v3, vcc, v4, v3, vcc
	global_load_dword v2, v[2:3], off offset:2048
	s_waitcnt vmcnt(0)
	ds_write_b32 v1, v2 offset:2048
.LBB12_15:
	s_or_b64 exec, exec, s[6:7]
.LBB12_16:
	s_andn2_saveexec_b64 s[4:5], s[4:5]
	s_cbranch_execz .LBB12_18
; %bb.17:
	global_load_dword v2, v1, s[0:1] offset:2048
	s_waitcnt vmcnt(0)
	ds_write_b32 v1, v2 offset:2048
.LBB12_18:
	;; [unrolled: 32-line block ×3, first 2 shown]
	s_or_b64 exec, exec, s[4:5]
	v_or_b32_e32 v16, 0x400, v0
	v_mov_b32_e32 v17, 0
	v_cmp_le_u32_e32 vcc, s22, v16
	s_and_saveexec_b64 s[4:5], vcc
	s_xor_b64 s[4:5], exec, s[4:5]
	s_cbranch_execz .LBB12_28
; %bb.25:
	v_cmp_gt_u64_e32 vcc, s[2:3], v[16:17]
	s_and_saveexec_b64 s[6:7], vcc
	s_cbranch_execz .LBB12_27
; %bb.26:
	v_mov_b32_e32 v3, s23
	v_subrev_co_u32_e32 v2, vcc, s22, v16
	v_subb_co_u32_e32 v3, vcc, 0, v3, vcc
	v_lshlrev_b64 v[2:3], 2, v[2:3]
	v_mov_b32_e32 v4, s10
	v_add_co_u32_e32 v2, vcc, s9, v2
	v_addc_co_u32_e32 v3, vcc, v4, v3, vcc
	global_load_dword v2, v[2:3], off
	s_waitcnt vmcnt(0)
	ds_write_b32 v1, v2 offset:4096
.LBB12_27:
	s_or_b64 exec, exec, s[6:7]
.LBB12_28:
	s_andn2_saveexec_b64 s[4:5], s[4:5]
	s_cbranch_execz .LBB12_30
; %bb.29:
	v_lshlrev_b32_e32 v2, 2, v16
	global_load_dword v2, v2, s[0:1]
	s_waitcnt vmcnt(0)
	ds_write_b32 v1, v2 offset:4096
.LBB12_30:
	s_or_b64 exec, exec, s[4:5]
	v_or_b32_e32 v18, 0x500, v0
	v_mov_b32_e32 v19, 0
	v_cmp_le_u32_e32 vcc, s22, v18
	s_and_saveexec_b64 s[4:5], vcc
	s_xor_b64 s[4:5], exec, s[4:5]
	s_cbranch_execz .LBB12_34
; %bb.31:
	v_cmp_gt_u64_e32 vcc, s[2:3], v[18:19]
	s_and_saveexec_b64 s[6:7], vcc
	s_cbranch_execz .LBB12_33
; %bb.32:
	v_mov_b32_e32 v3, s23
	v_subrev_co_u32_e32 v2, vcc, s22, v18
	v_subb_co_u32_e32 v3, vcc, 0, v3, vcc
	v_lshlrev_b64 v[2:3], 2, v[2:3]
	v_mov_b32_e32 v4, s10
	v_add_co_u32_e32 v2, vcc, s9, v2
	v_addc_co_u32_e32 v3, vcc, v4, v3, vcc
	global_load_dword v2, v[2:3], off
	s_waitcnt vmcnt(0)
	ds_write_b32 v1, v2 offset:5120
.LBB12_33:
	s_or_b64 exec, exec, s[6:7]
.LBB12_34:
	s_andn2_saveexec_b64 s[4:5], s[4:5]
	s_cbranch_execz .LBB12_36
; %bb.35:
	v_lshlrev_b32_e32 v2, 2, v18
	global_load_dword v2, v2, s[0:1]
	s_waitcnt vmcnt(0)
	ds_write_b32 v1, v2 offset:5120
.LBB12_36:
	;; [unrolled: 33-line block ×6, first 2 shown]
	s_or_b64 exec, exec, s[2:3]
	v_mul_u32_u24_e32 v2, 10, v0
	v_sub_u32_e64 v11, v2, s8 clamp
	v_min_u32_e32 v3, s22, v2
	v_cmp_lt_u32_e32 vcc, v11, v3
	s_waitcnt lgkmcnt(0)
	s_barrier
	s_and_saveexec_b64 s[0:1], vcc
	s_cbranch_execz .LBB12_64
; %bb.61:
	v_lshlrev_b32_e32 v4, 2, v2
	v_lshl_add_u32 v4, s22, 2, v4
	s_mov_b64 s[2:3], 0
.LBB12_62:                              ; =>This Inner Loop Header: Depth=1
	v_add_u32_e32 v5, v3, v11
	v_lshrrev_b32_e32 v5, 1, v5
	v_not_b32_e32 v6, v5
	v_lshlrev_b32_e32 v7, 2, v5
	v_lshl_add_u32 v6, v6, 2, v4
	ds_read_b32 v7, v7
	ds_read_b32 v6, v6
	v_add_u32_e32 v8, 1, v5
	s_waitcnt lgkmcnt(0)
	v_cmp_lt_i32_e32 vcc, v6, v7
	v_cndmask_b32_e32 v3, v3, v5, vcc
	v_cndmask_b32_e32 v11, v8, v11, vcc
	v_cmp_ge_u32_e32 vcc, v11, v3
	s_or_b64 s[2:3], vcc, s[2:3]
	s_andn2_b64 exec, exec, s[2:3]
	s_cbranch_execnz .LBB12_62
; %bb.63:
	s_or_b64 exec, exec, s[2:3]
.LBB12_64:
	s_or_b64 exec, exec, s[0:1]
	v_add_u32_e32 v2, s22, v2
	s_add_i32 s23, s8, s22
	v_sub_u32_e32 v13, v2, v11
	v_cmp_ge_u32_e32 vcc, s22, v11
	v_cmp_ge_u32_e64 s[0:1], s23, v13
	s_or_b64 s[0:1], vcc, s[0:1]
                                        ; implicit-def: $vgpr31
                                        ; implicit-def: $vgpr33
                                        ; implicit-def: $vgpr29
	s_and_saveexec_b64 s[16:17], s[0:1]
                                        ; implicit-def: $vgpr6_vgpr7_vgpr8_vgpr9
                                        ; implicit-def: $vgpr2_vgpr3_vgpr4_vgpr5
	s_cbranch_execz .LBB12_70
; %bb.65:
	v_cmp_gt_u32_e32 vcc, s22, v11
                                        ; implicit-def: $vgpr2
	s_and_saveexec_b64 s[0:1], vcc
	s_cbranch_execz .LBB12_67
; %bb.66:
	v_lshlrev_b32_e32 v2, 2, v11
	ds_read_b32 v2, v2
.LBB12_67:
	s_or_b64 exec, exec, s[0:1]
	v_cmp_le_u32_e64 s[0:1], s23, v13
	v_cmp_gt_u32_e64 s[2:3], s23, v13
                                        ; implicit-def: $vgpr3
	s_and_saveexec_b64 s[4:5], s[2:3]
	s_cbranch_execz .LBB12_69
; %bb.68:
	v_lshlrev_b32_e32 v3, 2, v13
	ds_read_b32 v3, v3
.LBB12_69:
	s_or_b64 exec, exec, s[4:5]
	s_waitcnt lgkmcnt(0)
	v_cmp_ge_i32_e64 s[2:3], v3, v2
	s_and_b64 s[2:3], vcc, s[2:3]
	s_or_b64 vcc, s[0:1], s[2:3]
	v_mov_b32_e32 v5, s23
	v_mov_b32_e32 v7, s22
	v_cndmask_b32_e32 v4, v13, v11, vcc
	v_cndmask_b32_e32 v6, v5, v7, vcc
	v_add_u32_e32 v4, 1, v4
	v_add_u32_e32 v6, -1, v6
	v_min_u32_e32 v6, v4, v6
	v_lshlrev_b32_e32 v6, 2, v6
	ds_read_b32 v6, v6
	v_cndmask_b32_e32 v9, v4, v13, vcc
	v_cndmask_b32_e32 v4, v11, v4, vcc
	v_cmp_gt_u32_e64 s[2:3], s22, v4
	v_cmp_le_u32_e64 s[0:1], s23, v9
	s_waitcnt lgkmcnt(0)
	v_cndmask_b32_e32 v8, v6, v3, vcc
	v_cndmask_b32_e32 v6, v2, v6, vcc
	v_cmp_ge_i32_e64 s[4:5], v8, v6
	s_and_b64 s[2:3], s[2:3], s[4:5]
	s_or_b64 s[0:1], s[0:1], s[2:3]
	v_cndmask_b32_e64 v11, v9, v4, s[0:1]
	v_cndmask_b32_e64 v13, v5, v7, s[0:1]
	v_add_u32_e32 v11, 1, v11
	v_add_u32_e32 v13, -1, v13
	v_min_u32_e32 v13, v11, v13
	v_lshlrev_b32_e32 v13, 2, v13
	ds_read_b32 v13, v13
	v_cndmask_b32_e64 v4, v4, v11, s[0:1]
	v_cndmask_b32_e64 v9, v11, v9, s[0:1]
	v_cmp_gt_u32_e64 s[4:5], s22, v4
	v_cmp_le_u32_e64 s[2:3], s23, v9
	s_waitcnt lgkmcnt(0)
	v_cndmask_b32_e64 v15, v13, v8, s[0:1]
	v_cndmask_b32_e64 v13, v6, v13, s[0:1]
	v_cmp_ge_i32_e64 s[6:7], v15, v13
	s_and_b64 s[4:5], s[4:5], s[6:7]
	s_or_b64 s[2:3], s[2:3], s[4:5]
	v_cndmask_b32_e64 v11, v9, v4, s[2:3]
	v_cndmask_b32_e64 v17, v5, v7, s[2:3]
	v_add_u32_e32 v11, 1, v11
	v_add_u32_e32 v17, -1, v17
	v_min_u32_e32 v17, v11, v17
	v_lshlrev_b32_e32 v17, 2, v17
	ds_read_b32 v17, v17
	v_cndmask_b32_e64 v4, v4, v11, s[2:3]
	v_cndmask_b32_e64 v9, v11, v9, s[2:3]
	v_cmp_gt_u32_e64 s[6:7], s22, v4
	v_cmp_le_u32_e64 s[4:5], s23, v9
	s_waitcnt lgkmcnt(0)
	v_cndmask_b32_e64 v19, v17, v15, s[2:3]
	v_cndmask_b32_e64 v17, v13, v17, s[2:3]
	;; [unrolled: 17-line block ×5, first 2 shown]
	v_cmp_ge_i32_e64 s[14:15], v30, v31
	s_and_b64 s[12:13], s[12:13], s[14:15]
	s_or_b64 s[10:11], s[10:11], s[12:13]
	v_cndmask_b32_e64 v11, v9, v4, s[10:11]
	v_cndmask_b32_e64 v28, v5, v7, s[10:11]
	v_add_u32_e32 v11, 1, v11
	v_add_u32_e32 v28, -1, v28
	v_min_u32_e32 v28, v11, v28
	v_lshlrev_b32_e32 v28, 2, v28
	ds_read_b32 v28, v28
	v_cndmask_b32_e64 v4, v4, v11, s[10:11]
	v_cndmask_b32_e64 v9, v11, v9, s[10:11]
	v_cmp_gt_u32_e64 s[12:13], s22, v4
	v_cndmask_b32_e32 v2, v3, v2, vcc
	s_waitcnt lgkmcnt(0)
	v_cndmask_b32_e64 v33, v28, v30, s[10:11]
	v_cndmask_b32_e64 v34, v31, v28, s[10:11]
	v_cmp_ge_i32_e64 s[14:15], v33, v34
	v_cmp_le_u32_e32 vcc, s23, v9
	s_and_b64 s[12:13], s[12:13], s[14:15]
	s_or_b64 vcc, vcc, s[12:13]
	v_cndmask_b32_e32 v3, v9, v4, vcc
	v_cndmask_b32_e32 v11, v5, v7, vcc
	v_add_u32_e32 v32, 1, v3
	v_add_u32_e32 v3, -1, v11
	v_min_u32_e32 v3, v32, v3
	v_lshlrev_b32_e32 v3, 2, v3
	ds_read_b32 v11, v3
	v_cndmask_b32_e64 v3, v8, v6, s[0:1]
	v_cndmask_b32_e32 v4, v4, v32, vcc
	v_cndmask_b32_e64 v28, v15, v13, s[2:3]
	v_cndmask_b32_e64 v29, v19, v17, s[4:5]
	s_waitcnt lgkmcnt(0)
	v_cndmask_b32_e32 v8, v11, v33, vcc
	v_cndmask_b32_e32 v11, v34, v11, vcc
	;; [unrolled: 1-line block ×3, first 2 shown]
	v_cmp_gt_u32_e64 s[2:3], s22, v4
	v_cmp_ge_i32_e64 s[4:5], v8, v11
	v_cmp_le_u32_e64 s[0:1], s23, v9
	s_and_b64 s[2:3], s[2:3], s[4:5]
	s_or_b64 s[0:1], s[0:1], s[2:3]
	v_cndmask_b32_e64 v13, v9, v4, s[0:1]
	v_cndmask_b32_e64 v5, v5, v7, s[0:1]
	v_add_u32_e32 v13, 1, v13
	v_add_u32_e32 v5, -1, v5
	v_min_u32_e32 v5, v13, v5
	v_lshlrev_b32_e32 v5, 2, v5
	ds_read_b32 v5, v5
	v_cndmask_b32_e64 v32, v30, v31, s[10:11]
	v_cndmask_b32_e64 v30, v8, v11, s[0:1]
	;; [unrolled: 1-line block ×4, first 2 shown]
	s_waitcnt lgkmcnt(0)
	v_cndmask_b32_e64 v8, v5, v8, s[0:1]
	v_cndmask_b32_e64 v5, v11, v5, s[0:1]
	v_cmp_gt_u32_e64 s[0:1], s22, v4
	v_cmp_ge_i32_e64 s[2:3], v8, v5
	v_cndmask_b32_e32 v33, v33, v34, vcc
	v_cmp_le_u32_e32 vcc, s23, v9
	s_and_b64 s[0:1], s[0:1], s[2:3]
	s_or_b64 vcc, vcc, s[0:1]
	v_cndmask_b32_e64 v6, v23, v21, s[6:7]
	v_cndmask_b32_e64 v7, v27, v25, s[8:9]
	v_cndmask_b32_e32 v31, v8, v5, vcc
.LBB12_70:
	s_or_b64 exec, exec, s[16:17]
	s_sub_i32 s6, s21, s20
	s_mov_b32 s21, 0
	s_lshl_b64 s[0:1], s[20:21], 2
	s_add_u32 s0, s18, s0
	s_addc_u32 s1, s19, s1
	s_cmpk_gt_u32 s6, 0x9ff
	v_mul_u32_u24_e32 v11, 40, v0
	s_barrier
	ds_write2_b64 v11, v[2:3], v[28:29] offset1:1
	ds_write2_b64 v11, v[6:7], v[32:33] offset0:2 offset1:3
	ds_write_b64 v11, v[30:31] offset:32
	s_waitcnt lgkmcnt(0)
	s_cbranch_scc0 .LBB12_72
; %bb.71:
	s_movk_i32 s2, 0xffdc
	v_mad_i32_i24 v2, v0, s2, v11
	s_barrier
	ds_read2st64_b32 v[4:5], v2 offset1:4
	ds_read2st64_b32 v[6:7], v2 offset0:8 offset1:12
	ds_read2st64_b32 v[8:9], v2 offset0:16 offset1:20
	ds_read2st64_b32 v[28:29], v2 offset0:24 offset1:28
	ds_read2st64_b32 v[2:3], v2 offset0:32 offset1:36
	v_mov_b32_e32 v13, s1
	v_add_co_u32_e32 v15, vcc, s0, v1
	v_addc_co_u32_e32 v13, vcc, 0, v13, vcc
	s_movk_i32 s2, 0x1000
	s_waitcnt lgkmcnt(4)
	global_store_dword v1, v4, s[0:1]
	global_store_dword v1, v5, s[0:1] offset:1024
	s_waitcnt lgkmcnt(3)
	global_store_dword v1, v6, s[0:1] offset:2048
	global_store_dword v1, v7, s[0:1] offset:3072
	v_add_co_u32_e32 v4, vcc, s2, v15
	v_addc_co_u32_e32 v5, vcc, 0, v13, vcc
	s_waitcnt lgkmcnt(2)
	global_store_dword v[4:5], v8, off
	global_store_dword v[4:5], v9, off offset:1024
	s_waitcnt lgkmcnt(1)
	global_store_dword v[4:5], v28, off offset:2048
	global_store_dword v[4:5], v29, off offset:3072
	v_add_co_u32_e32 v4, vcc, 0x2000, v15
	v_addc_co_u32_e32 v5, vcc, 0, v13, vcc
	s_waitcnt lgkmcnt(0)
	global_store_dword v[4:5], v2, off
	s_mov_b64 s[2:3], -1
	s_cbranch_execz .LBB12_73
	s_branch .LBB12_84
.LBB12_72:
	s_mov_b64 s[2:3], 0
                                        ; implicit-def: $vgpr3
.LBB12_73:
	s_movk_i32 s2, 0xffdc
	v_mad_i32_i24 v2, v0, s2, v11
	s_barrier
	ds_read2st64_b32 v[30:31], v2 offset0:4 offset1:8
	ds_read2st64_b32 v[28:29], v2 offset0:12 offset1:16
	;; [unrolled: 1-line block ×4, first 2 shown]
	ds_read_b32 v3, v2 offset:9216
	v_mov_b32_e32 v2, s1
	v_add_co_u32_e32 v6, vcc, s0, v1
	v_addc_co_u32_e32 v7, vcc, 0, v2, vcc
	v_cmp_gt_u32_e32 vcc, s6, v0
	s_and_saveexec_b64 s[2:3], vcc
	s_cbranch_execnz .LBB12_87
; %bb.74:
	s_or_b64 exec, exec, s[2:3]
	v_cmp_gt_u32_e32 vcc, s6, v10
	s_and_saveexec_b64 s[2:3], vcc
	s_cbranch_execnz .LBB12_88
.LBB12_75:
	s_or_b64 exec, exec, s[2:3]
	v_cmp_gt_u32_e32 vcc, s6, v12
	s_and_saveexec_b64 s[2:3], vcc
	s_cbranch_execnz .LBB12_89
.LBB12_76:
	s_or_b64 exec, exec, s[2:3]
	v_cmp_gt_u32_e32 vcc, s6, v14
	s_and_saveexec_b64 s[2:3], vcc
	s_cbranch_execnz .LBB12_90
.LBB12_77:
	s_or_b64 exec, exec, s[2:3]
	v_cmp_gt_u32_e32 vcc, s6, v16
	s_and_saveexec_b64 s[2:3], vcc
	s_cbranch_execnz .LBB12_91
.LBB12_78:
	s_or_b64 exec, exec, s[2:3]
	v_cmp_gt_u32_e32 vcc, s6, v18
	s_and_saveexec_b64 s[2:3], vcc
	s_cbranch_execnz .LBB12_92
.LBB12_79:
	s_or_b64 exec, exec, s[2:3]
	v_cmp_gt_u32_e32 vcc, s6, v20
	s_and_saveexec_b64 s[2:3], vcc
	s_cbranch_execnz .LBB12_93
.LBB12_80:
	s_or_b64 exec, exec, s[2:3]
	v_cmp_gt_u32_e32 vcc, s6, v22
	s_and_saveexec_b64 s[2:3], vcc
	s_cbranch_execnz .LBB12_94
.LBB12_81:
	s_or_b64 exec, exec, s[2:3]
	v_cmp_gt_u32_e32 vcc, s6, v24
	s_and_saveexec_b64 s[2:3], vcc
	s_cbranch_execz .LBB12_83
.LBB12_82:
	v_add_co_u32_e32 v6, vcc, 0x2000, v6
	v_addc_co_u32_e32 v7, vcc, 0, v7, vcc
	s_waitcnt lgkmcnt(1)
	global_store_dword v[6:7], v5, off
.LBB12_83:
	s_or_b64 exec, exec, s[2:3]
	v_cmp_gt_u32_e64 s[2:3], s6, v26
.LBB12_84:
	s_and_saveexec_b64 s[4:5], s[2:3]
	s_cbranch_execnz .LBB12_86
; %bb.85:
	s_endpgm
.LBB12_86:
	v_mov_b32_e32 v0, s1
	v_add_co_u32_e32 v1, vcc, s0, v1
	v_addc_co_u32_e32 v2, vcc, 0, v0, vcc
	v_add_co_u32_e32 v0, vcc, 0x2000, v1
	v_addc_co_u32_e32 v1, vcc, 0, v2, vcc
	s_waitcnt lgkmcnt(0)
	global_store_dword v[0:1], v3, off offset:1024
	s_endpgm
.LBB12_87:
	v_mul_i32_i24_e32 v0, 0xffffffdc, v0
	v_add_u32_e32 v0, v11, v0
	ds_read_b32 v0, v0
	s_waitcnt lgkmcnt(0)
	global_store_dword v[6:7], v0, off
	s_or_b64 exec, exec, s[2:3]
	v_cmp_gt_u32_e32 vcc, s6, v10
	s_and_saveexec_b64 s[2:3], vcc
	s_cbranch_execz .LBB12_75
.LBB12_88:
	s_waitcnt lgkmcnt(4)
	global_store_dword v[6:7], v30, off offset:1024
	s_or_b64 exec, exec, s[2:3]
	v_cmp_gt_u32_e32 vcc, s6, v12
	s_and_saveexec_b64 s[2:3], vcc
	s_cbranch_execz .LBB12_76
.LBB12_89:
	s_waitcnt lgkmcnt(4)
	global_store_dword v[6:7], v31, off offset:2048
	s_or_b64 exec, exec, s[2:3]
	v_cmp_gt_u32_e32 vcc, s6, v14
	s_and_saveexec_b64 s[2:3], vcc
	s_cbranch_execz .LBB12_77
.LBB12_90:
	s_waitcnt lgkmcnt(3)
	global_store_dword v[6:7], v28, off offset:3072
	s_or_b64 exec, exec, s[2:3]
	v_cmp_gt_u32_e32 vcc, s6, v16
	s_and_saveexec_b64 s[2:3], vcc
	s_cbranch_execz .LBB12_78
.LBB12_91:
	v_add_co_u32_e32 v10, vcc, 0x1000, v6
	v_addc_co_u32_e32 v11, vcc, 0, v7, vcc
	s_waitcnt lgkmcnt(3)
	global_store_dword v[10:11], v29, off
	s_or_b64 exec, exec, s[2:3]
	v_cmp_gt_u32_e32 vcc, s6, v18
	s_and_saveexec_b64 s[2:3], vcc
	s_cbranch_execz .LBB12_79
.LBB12_92:
	v_add_co_u32_e32 v10, vcc, 0x1000, v6
	v_addc_co_u32_e32 v11, vcc, 0, v7, vcc
	s_waitcnt lgkmcnt(2)
	global_store_dword v[10:11], v8, off offset:1024
	s_or_b64 exec, exec, s[2:3]
	v_cmp_gt_u32_e32 vcc, s6, v20
	s_and_saveexec_b64 s[2:3], vcc
	s_cbranch_execz .LBB12_80
.LBB12_93:
	v_add_co_u32_e32 v10, vcc, 0x1000, v6
	v_addc_co_u32_e32 v11, vcc, 0, v7, vcc
	s_waitcnt lgkmcnt(2)
	global_store_dword v[10:11], v9, off offset:2048
	s_or_b64 exec, exec, s[2:3]
	v_cmp_gt_u32_e32 vcc, s6, v22
	s_and_saveexec_b64 s[2:3], vcc
	s_cbranch_execz .LBB12_81
.LBB12_94:
	s_waitcnt lgkmcnt(2)
	v_add_co_u32_e32 v8, vcc, 0x1000, v6
	v_addc_co_u32_e32 v9, vcc, 0, v7, vcc
	s_waitcnt lgkmcnt(1)
	global_store_dword v[8:9], v4, off offset:3072
	s_or_b64 exec, exec, s[2:3]
	v_cmp_gt_u32_e32 vcc, s6, v24
	s_and_saveexec_b64 s[2:3], vcc
	s_cbranch_execnz .LBB12_82
	s_branch .LBB12_83
	.section	.rodata,"a",@progbits
	.p2align	6, 0x0
	.amdhsa_kernel _ZN7rocprim17ROCPRIM_400000_NS6detail17trampoline_kernelINS0_14default_configENS1_21merge_config_selectorIiNS0_10empty_typeEEEZNS1_10merge_implIS3_N6thrust23THRUST_200600_302600_NS6detail15normal_iteratorINS9_10device_ptrIKiEEEESF_NSB_INSC_IiEEEEPS5_SI_SI_NS9_4lessIiEEEE10hipError_tPvRmT0_T1_T2_T3_T4_T5_mmT6_P12ihipStream_tbEUlT_E0_NS1_11comp_targetILNS1_3genE4ELNS1_11target_archE910ELNS1_3gpuE8ELNS1_3repE0EEENS1_30default_config_static_selectorELNS0_4arch9wavefront6targetE1EEEvSP_
		.amdhsa_group_segment_fixed_size 10256
		.amdhsa_private_segment_fixed_size 0
		.amdhsa_kernarg_size 88
		.amdhsa_user_sgpr_count 6
		.amdhsa_user_sgpr_private_segment_buffer 1
		.amdhsa_user_sgpr_dispatch_ptr 0
		.amdhsa_user_sgpr_queue_ptr 0
		.amdhsa_user_sgpr_kernarg_segment_ptr 1
		.amdhsa_user_sgpr_dispatch_id 0
		.amdhsa_user_sgpr_flat_scratch_init 0
		.amdhsa_user_sgpr_kernarg_preload_length 0
		.amdhsa_user_sgpr_kernarg_preload_offset 0
		.amdhsa_user_sgpr_private_segment_size 0
		.amdhsa_uses_dynamic_stack 0
		.amdhsa_system_sgpr_private_segment_wavefront_offset 0
		.amdhsa_system_sgpr_workgroup_id_x 1
		.amdhsa_system_sgpr_workgroup_id_y 0
		.amdhsa_system_sgpr_workgroup_id_z 0
		.amdhsa_system_sgpr_workgroup_info 0
		.amdhsa_system_vgpr_workitem_id 0
		.amdhsa_next_free_vgpr 35
		.amdhsa_next_free_sgpr 24
		.amdhsa_accum_offset 36
		.amdhsa_reserve_vcc 1
		.amdhsa_reserve_flat_scratch 0
		.amdhsa_float_round_mode_32 0
		.amdhsa_float_round_mode_16_64 0
		.amdhsa_float_denorm_mode_32 3
		.amdhsa_float_denorm_mode_16_64 3
		.amdhsa_dx10_clamp 1
		.amdhsa_ieee_mode 1
		.amdhsa_fp16_overflow 0
		.amdhsa_tg_split 0
		.amdhsa_exception_fp_ieee_invalid_op 0
		.amdhsa_exception_fp_denorm_src 0
		.amdhsa_exception_fp_ieee_div_zero 0
		.amdhsa_exception_fp_ieee_overflow 0
		.amdhsa_exception_fp_ieee_underflow 0
		.amdhsa_exception_fp_ieee_inexact 0
		.amdhsa_exception_int_div_zero 0
	.end_amdhsa_kernel
	.section	.text._ZN7rocprim17ROCPRIM_400000_NS6detail17trampoline_kernelINS0_14default_configENS1_21merge_config_selectorIiNS0_10empty_typeEEEZNS1_10merge_implIS3_N6thrust23THRUST_200600_302600_NS6detail15normal_iteratorINS9_10device_ptrIKiEEEESF_NSB_INSC_IiEEEEPS5_SI_SI_NS9_4lessIiEEEE10hipError_tPvRmT0_T1_T2_T3_T4_T5_mmT6_P12ihipStream_tbEUlT_E0_NS1_11comp_targetILNS1_3genE4ELNS1_11target_archE910ELNS1_3gpuE8ELNS1_3repE0EEENS1_30default_config_static_selectorELNS0_4arch9wavefront6targetE1EEEvSP_,"axG",@progbits,_ZN7rocprim17ROCPRIM_400000_NS6detail17trampoline_kernelINS0_14default_configENS1_21merge_config_selectorIiNS0_10empty_typeEEEZNS1_10merge_implIS3_N6thrust23THRUST_200600_302600_NS6detail15normal_iteratorINS9_10device_ptrIKiEEEESF_NSB_INSC_IiEEEEPS5_SI_SI_NS9_4lessIiEEEE10hipError_tPvRmT0_T1_T2_T3_T4_T5_mmT6_P12ihipStream_tbEUlT_E0_NS1_11comp_targetILNS1_3genE4ELNS1_11target_archE910ELNS1_3gpuE8ELNS1_3repE0EEENS1_30default_config_static_selectorELNS0_4arch9wavefront6targetE1EEEvSP_,comdat
.Lfunc_end12:
	.size	_ZN7rocprim17ROCPRIM_400000_NS6detail17trampoline_kernelINS0_14default_configENS1_21merge_config_selectorIiNS0_10empty_typeEEEZNS1_10merge_implIS3_N6thrust23THRUST_200600_302600_NS6detail15normal_iteratorINS9_10device_ptrIKiEEEESF_NSB_INSC_IiEEEEPS5_SI_SI_NS9_4lessIiEEEE10hipError_tPvRmT0_T1_T2_T3_T4_T5_mmT6_P12ihipStream_tbEUlT_E0_NS1_11comp_targetILNS1_3genE4ELNS1_11target_archE910ELNS1_3gpuE8ELNS1_3repE0EEENS1_30default_config_static_selectorELNS0_4arch9wavefront6targetE1EEEvSP_, .Lfunc_end12-_ZN7rocprim17ROCPRIM_400000_NS6detail17trampoline_kernelINS0_14default_configENS1_21merge_config_selectorIiNS0_10empty_typeEEEZNS1_10merge_implIS3_N6thrust23THRUST_200600_302600_NS6detail15normal_iteratorINS9_10device_ptrIKiEEEESF_NSB_INSC_IiEEEEPS5_SI_SI_NS9_4lessIiEEEE10hipError_tPvRmT0_T1_T2_T3_T4_T5_mmT6_P12ihipStream_tbEUlT_E0_NS1_11comp_targetILNS1_3genE4ELNS1_11target_archE910ELNS1_3gpuE8ELNS1_3repE0EEENS1_30default_config_static_selectorELNS0_4arch9wavefront6targetE1EEEvSP_
                                        ; -- End function
	.section	.AMDGPU.csdata,"",@progbits
; Kernel info:
; codeLenInByte = 3584
; NumSgprs: 28
; NumVgprs: 35
; NumAgprs: 0
; TotalNumVgprs: 35
; ScratchSize: 0
; MemoryBound: 0
; FloatMode: 240
; IeeeMode: 1
; LDSByteSize: 10256 bytes/workgroup (compile time only)
; SGPRBlocks: 3
; VGPRBlocks: 4
; NumSGPRsForWavesPerEU: 28
; NumVGPRsForWavesPerEU: 35
; AccumOffset: 36
; Occupancy: 6
; WaveLimiterHint : 1
; COMPUTE_PGM_RSRC2:SCRATCH_EN: 0
; COMPUTE_PGM_RSRC2:USER_SGPR: 6
; COMPUTE_PGM_RSRC2:TRAP_HANDLER: 0
; COMPUTE_PGM_RSRC2:TGID_X_EN: 1
; COMPUTE_PGM_RSRC2:TGID_Y_EN: 0
; COMPUTE_PGM_RSRC2:TGID_Z_EN: 0
; COMPUTE_PGM_RSRC2:TIDIG_COMP_CNT: 0
; COMPUTE_PGM_RSRC3_GFX90A:ACCUM_OFFSET: 8
; COMPUTE_PGM_RSRC3_GFX90A:TG_SPLIT: 0
	.section	.text._ZN7rocprim17ROCPRIM_400000_NS6detail17trampoline_kernelINS0_14default_configENS1_21merge_config_selectorIiNS0_10empty_typeEEEZNS1_10merge_implIS3_N6thrust23THRUST_200600_302600_NS6detail15normal_iteratorINS9_10device_ptrIKiEEEESF_NSB_INSC_IiEEEEPS5_SI_SI_NS9_4lessIiEEEE10hipError_tPvRmT0_T1_T2_T3_T4_T5_mmT6_P12ihipStream_tbEUlT_E0_NS1_11comp_targetILNS1_3genE3ELNS1_11target_archE908ELNS1_3gpuE7ELNS1_3repE0EEENS1_30default_config_static_selectorELNS0_4arch9wavefront6targetE1EEEvSP_,"axG",@progbits,_ZN7rocprim17ROCPRIM_400000_NS6detail17trampoline_kernelINS0_14default_configENS1_21merge_config_selectorIiNS0_10empty_typeEEEZNS1_10merge_implIS3_N6thrust23THRUST_200600_302600_NS6detail15normal_iteratorINS9_10device_ptrIKiEEEESF_NSB_INSC_IiEEEEPS5_SI_SI_NS9_4lessIiEEEE10hipError_tPvRmT0_T1_T2_T3_T4_T5_mmT6_P12ihipStream_tbEUlT_E0_NS1_11comp_targetILNS1_3genE3ELNS1_11target_archE908ELNS1_3gpuE7ELNS1_3repE0EEENS1_30default_config_static_selectorELNS0_4arch9wavefront6targetE1EEEvSP_,comdat
	.protected	_ZN7rocprim17ROCPRIM_400000_NS6detail17trampoline_kernelINS0_14default_configENS1_21merge_config_selectorIiNS0_10empty_typeEEEZNS1_10merge_implIS3_N6thrust23THRUST_200600_302600_NS6detail15normal_iteratorINS9_10device_ptrIKiEEEESF_NSB_INSC_IiEEEEPS5_SI_SI_NS9_4lessIiEEEE10hipError_tPvRmT0_T1_T2_T3_T4_T5_mmT6_P12ihipStream_tbEUlT_E0_NS1_11comp_targetILNS1_3genE3ELNS1_11target_archE908ELNS1_3gpuE7ELNS1_3repE0EEENS1_30default_config_static_selectorELNS0_4arch9wavefront6targetE1EEEvSP_ ; -- Begin function _ZN7rocprim17ROCPRIM_400000_NS6detail17trampoline_kernelINS0_14default_configENS1_21merge_config_selectorIiNS0_10empty_typeEEEZNS1_10merge_implIS3_N6thrust23THRUST_200600_302600_NS6detail15normal_iteratorINS9_10device_ptrIKiEEEESF_NSB_INSC_IiEEEEPS5_SI_SI_NS9_4lessIiEEEE10hipError_tPvRmT0_T1_T2_T3_T4_T5_mmT6_P12ihipStream_tbEUlT_E0_NS1_11comp_targetILNS1_3genE3ELNS1_11target_archE908ELNS1_3gpuE7ELNS1_3repE0EEENS1_30default_config_static_selectorELNS0_4arch9wavefront6targetE1EEEvSP_
	.globl	_ZN7rocprim17ROCPRIM_400000_NS6detail17trampoline_kernelINS0_14default_configENS1_21merge_config_selectorIiNS0_10empty_typeEEEZNS1_10merge_implIS3_N6thrust23THRUST_200600_302600_NS6detail15normal_iteratorINS9_10device_ptrIKiEEEESF_NSB_INSC_IiEEEEPS5_SI_SI_NS9_4lessIiEEEE10hipError_tPvRmT0_T1_T2_T3_T4_T5_mmT6_P12ihipStream_tbEUlT_E0_NS1_11comp_targetILNS1_3genE3ELNS1_11target_archE908ELNS1_3gpuE7ELNS1_3repE0EEENS1_30default_config_static_selectorELNS0_4arch9wavefront6targetE1EEEvSP_
	.p2align	8
	.type	_ZN7rocprim17ROCPRIM_400000_NS6detail17trampoline_kernelINS0_14default_configENS1_21merge_config_selectorIiNS0_10empty_typeEEEZNS1_10merge_implIS3_N6thrust23THRUST_200600_302600_NS6detail15normal_iteratorINS9_10device_ptrIKiEEEESF_NSB_INSC_IiEEEEPS5_SI_SI_NS9_4lessIiEEEE10hipError_tPvRmT0_T1_T2_T3_T4_T5_mmT6_P12ihipStream_tbEUlT_E0_NS1_11comp_targetILNS1_3genE3ELNS1_11target_archE908ELNS1_3gpuE7ELNS1_3repE0EEENS1_30default_config_static_selectorELNS0_4arch9wavefront6targetE1EEEvSP_,@function
_ZN7rocprim17ROCPRIM_400000_NS6detail17trampoline_kernelINS0_14default_configENS1_21merge_config_selectorIiNS0_10empty_typeEEEZNS1_10merge_implIS3_N6thrust23THRUST_200600_302600_NS6detail15normal_iteratorINS9_10device_ptrIKiEEEESF_NSB_INSC_IiEEEEPS5_SI_SI_NS9_4lessIiEEEE10hipError_tPvRmT0_T1_T2_T3_T4_T5_mmT6_P12ihipStream_tbEUlT_E0_NS1_11comp_targetILNS1_3genE3ELNS1_11target_archE908ELNS1_3gpuE7ELNS1_3repE0EEENS1_30default_config_static_selectorELNS0_4arch9wavefront6targetE1EEEvSP_: ; @_ZN7rocprim17ROCPRIM_400000_NS6detail17trampoline_kernelINS0_14default_configENS1_21merge_config_selectorIiNS0_10empty_typeEEEZNS1_10merge_implIS3_N6thrust23THRUST_200600_302600_NS6detail15normal_iteratorINS9_10device_ptrIKiEEEESF_NSB_INSC_IiEEEEPS5_SI_SI_NS9_4lessIiEEEE10hipError_tPvRmT0_T1_T2_T3_T4_T5_mmT6_P12ihipStream_tbEUlT_E0_NS1_11comp_targetILNS1_3genE3ELNS1_11target_archE908ELNS1_3gpuE7ELNS1_3repE0EEENS1_30default_config_static_selectorELNS0_4arch9wavefront6targetE1EEEvSP_
; %bb.0:
	.section	.rodata,"a",@progbits
	.p2align	6, 0x0
	.amdhsa_kernel _ZN7rocprim17ROCPRIM_400000_NS6detail17trampoline_kernelINS0_14default_configENS1_21merge_config_selectorIiNS0_10empty_typeEEEZNS1_10merge_implIS3_N6thrust23THRUST_200600_302600_NS6detail15normal_iteratorINS9_10device_ptrIKiEEEESF_NSB_INSC_IiEEEEPS5_SI_SI_NS9_4lessIiEEEE10hipError_tPvRmT0_T1_T2_T3_T4_T5_mmT6_P12ihipStream_tbEUlT_E0_NS1_11comp_targetILNS1_3genE3ELNS1_11target_archE908ELNS1_3gpuE7ELNS1_3repE0EEENS1_30default_config_static_selectorELNS0_4arch9wavefront6targetE1EEEvSP_
		.amdhsa_group_segment_fixed_size 0
		.amdhsa_private_segment_fixed_size 0
		.amdhsa_kernarg_size 88
		.amdhsa_user_sgpr_count 6
		.amdhsa_user_sgpr_private_segment_buffer 1
		.amdhsa_user_sgpr_dispatch_ptr 0
		.amdhsa_user_sgpr_queue_ptr 0
		.amdhsa_user_sgpr_kernarg_segment_ptr 1
		.amdhsa_user_sgpr_dispatch_id 0
		.amdhsa_user_sgpr_flat_scratch_init 0
		.amdhsa_user_sgpr_kernarg_preload_length 0
		.amdhsa_user_sgpr_kernarg_preload_offset 0
		.amdhsa_user_sgpr_private_segment_size 0
		.amdhsa_uses_dynamic_stack 0
		.amdhsa_system_sgpr_private_segment_wavefront_offset 0
		.amdhsa_system_sgpr_workgroup_id_x 1
		.amdhsa_system_sgpr_workgroup_id_y 0
		.amdhsa_system_sgpr_workgroup_id_z 0
		.amdhsa_system_sgpr_workgroup_info 0
		.amdhsa_system_vgpr_workitem_id 0
		.amdhsa_next_free_vgpr 1
		.amdhsa_next_free_sgpr 0
		.amdhsa_accum_offset 4
		.amdhsa_reserve_vcc 0
		.amdhsa_reserve_flat_scratch 0
		.amdhsa_float_round_mode_32 0
		.amdhsa_float_round_mode_16_64 0
		.amdhsa_float_denorm_mode_32 3
		.amdhsa_float_denorm_mode_16_64 3
		.amdhsa_dx10_clamp 1
		.amdhsa_ieee_mode 1
		.amdhsa_fp16_overflow 0
		.amdhsa_tg_split 0
		.amdhsa_exception_fp_ieee_invalid_op 0
		.amdhsa_exception_fp_denorm_src 0
		.amdhsa_exception_fp_ieee_div_zero 0
		.amdhsa_exception_fp_ieee_overflow 0
		.amdhsa_exception_fp_ieee_underflow 0
		.amdhsa_exception_fp_ieee_inexact 0
		.amdhsa_exception_int_div_zero 0
	.end_amdhsa_kernel
	.section	.text._ZN7rocprim17ROCPRIM_400000_NS6detail17trampoline_kernelINS0_14default_configENS1_21merge_config_selectorIiNS0_10empty_typeEEEZNS1_10merge_implIS3_N6thrust23THRUST_200600_302600_NS6detail15normal_iteratorINS9_10device_ptrIKiEEEESF_NSB_INSC_IiEEEEPS5_SI_SI_NS9_4lessIiEEEE10hipError_tPvRmT0_T1_T2_T3_T4_T5_mmT6_P12ihipStream_tbEUlT_E0_NS1_11comp_targetILNS1_3genE3ELNS1_11target_archE908ELNS1_3gpuE7ELNS1_3repE0EEENS1_30default_config_static_selectorELNS0_4arch9wavefront6targetE1EEEvSP_,"axG",@progbits,_ZN7rocprim17ROCPRIM_400000_NS6detail17trampoline_kernelINS0_14default_configENS1_21merge_config_selectorIiNS0_10empty_typeEEEZNS1_10merge_implIS3_N6thrust23THRUST_200600_302600_NS6detail15normal_iteratorINS9_10device_ptrIKiEEEESF_NSB_INSC_IiEEEEPS5_SI_SI_NS9_4lessIiEEEE10hipError_tPvRmT0_T1_T2_T3_T4_T5_mmT6_P12ihipStream_tbEUlT_E0_NS1_11comp_targetILNS1_3genE3ELNS1_11target_archE908ELNS1_3gpuE7ELNS1_3repE0EEENS1_30default_config_static_selectorELNS0_4arch9wavefront6targetE1EEEvSP_,comdat
.Lfunc_end13:
	.size	_ZN7rocprim17ROCPRIM_400000_NS6detail17trampoline_kernelINS0_14default_configENS1_21merge_config_selectorIiNS0_10empty_typeEEEZNS1_10merge_implIS3_N6thrust23THRUST_200600_302600_NS6detail15normal_iteratorINS9_10device_ptrIKiEEEESF_NSB_INSC_IiEEEEPS5_SI_SI_NS9_4lessIiEEEE10hipError_tPvRmT0_T1_T2_T3_T4_T5_mmT6_P12ihipStream_tbEUlT_E0_NS1_11comp_targetILNS1_3genE3ELNS1_11target_archE908ELNS1_3gpuE7ELNS1_3repE0EEENS1_30default_config_static_selectorELNS0_4arch9wavefront6targetE1EEEvSP_, .Lfunc_end13-_ZN7rocprim17ROCPRIM_400000_NS6detail17trampoline_kernelINS0_14default_configENS1_21merge_config_selectorIiNS0_10empty_typeEEEZNS1_10merge_implIS3_N6thrust23THRUST_200600_302600_NS6detail15normal_iteratorINS9_10device_ptrIKiEEEESF_NSB_INSC_IiEEEEPS5_SI_SI_NS9_4lessIiEEEE10hipError_tPvRmT0_T1_T2_T3_T4_T5_mmT6_P12ihipStream_tbEUlT_E0_NS1_11comp_targetILNS1_3genE3ELNS1_11target_archE908ELNS1_3gpuE7ELNS1_3repE0EEENS1_30default_config_static_selectorELNS0_4arch9wavefront6targetE1EEEvSP_
                                        ; -- End function
	.section	.AMDGPU.csdata,"",@progbits
; Kernel info:
; codeLenInByte = 0
; NumSgprs: 4
; NumVgprs: 0
; NumAgprs: 0
; TotalNumVgprs: 0
; ScratchSize: 0
; MemoryBound: 0
; FloatMode: 240
; IeeeMode: 1
; LDSByteSize: 0 bytes/workgroup (compile time only)
; SGPRBlocks: 0
; VGPRBlocks: 0
; NumSGPRsForWavesPerEU: 4
; NumVGPRsForWavesPerEU: 1
; AccumOffset: 4
; Occupancy: 8
; WaveLimiterHint : 0
; COMPUTE_PGM_RSRC2:SCRATCH_EN: 0
; COMPUTE_PGM_RSRC2:USER_SGPR: 6
; COMPUTE_PGM_RSRC2:TRAP_HANDLER: 0
; COMPUTE_PGM_RSRC2:TGID_X_EN: 1
; COMPUTE_PGM_RSRC2:TGID_Y_EN: 0
; COMPUTE_PGM_RSRC2:TGID_Z_EN: 0
; COMPUTE_PGM_RSRC2:TIDIG_COMP_CNT: 0
; COMPUTE_PGM_RSRC3_GFX90A:ACCUM_OFFSET: 0
; COMPUTE_PGM_RSRC3_GFX90A:TG_SPLIT: 0
	.section	.text._ZN7rocprim17ROCPRIM_400000_NS6detail17trampoline_kernelINS0_14default_configENS1_21merge_config_selectorIiNS0_10empty_typeEEEZNS1_10merge_implIS3_N6thrust23THRUST_200600_302600_NS6detail15normal_iteratorINS9_10device_ptrIKiEEEESF_NSB_INSC_IiEEEEPS5_SI_SI_NS9_4lessIiEEEE10hipError_tPvRmT0_T1_T2_T3_T4_T5_mmT6_P12ihipStream_tbEUlT_E0_NS1_11comp_targetILNS1_3genE2ELNS1_11target_archE906ELNS1_3gpuE6ELNS1_3repE0EEENS1_30default_config_static_selectorELNS0_4arch9wavefront6targetE1EEEvSP_,"axG",@progbits,_ZN7rocprim17ROCPRIM_400000_NS6detail17trampoline_kernelINS0_14default_configENS1_21merge_config_selectorIiNS0_10empty_typeEEEZNS1_10merge_implIS3_N6thrust23THRUST_200600_302600_NS6detail15normal_iteratorINS9_10device_ptrIKiEEEESF_NSB_INSC_IiEEEEPS5_SI_SI_NS9_4lessIiEEEE10hipError_tPvRmT0_T1_T2_T3_T4_T5_mmT6_P12ihipStream_tbEUlT_E0_NS1_11comp_targetILNS1_3genE2ELNS1_11target_archE906ELNS1_3gpuE6ELNS1_3repE0EEENS1_30default_config_static_selectorELNS0_4arch9wavefront6targetE1EEEvSP_,comdat
	.protected	_ZN7rocprim17ROCPRIM_400000_NS6detail17trampoline_kernelINS0_14default_configENS1_21merge_config_selectorIiNS0_10empty_typeEEEZNS1_10merge_implIS3_N6thrust23THRUST_200600_302600_NS6detail15normal_iteratorINS9_10device_ptrIKiEEEESF_NSB_INSC_IiEEEEPS5_SI_SI_NS9_4lessIiEEEE10hipError_tPvRmT0_T1_T2_T3_T4_T5_mmT6_P12ihipStream_tbEUlT_E0_NS1_11comp_targetILNS1_3genE2ELNS1_11target_archE906ELNS1_3gpuE6ELNS1_3repE0EEENS1_30default_config_static_selectorELNS0_4arch9wavefront6targetE1EEEvSP_ ; -- Begin function _ZN7rocprim17ROCPRIM_400000_NS6detail17trampoline_kernelINS0_14default_configENS1_21merge_config_selectorIiNS0_10empty_typeEEEZNS1_10merge_implIS3_N6thrust23THRUST_200600_302600_NS6detail15normal_iteratorINS9_10device_ptrIKiEEEESF_NSB_INSC_IiEEEEPS5_SI_SI_NS9_4lessIiEEEE10hipError_tPvRmT0_T1_T2_T3_T4_T5_mmT6_P12ihipStream_tbEUlT_E0_NS1_11comp_targetILNS1_3genE2ELNS1_11target_archE906ELNS1_3gpuE6ELNS1_3repE0EEENS1_30default_config_static_selectorELNS0_4arch9wavefront6targetE1EEEvSP_
	.globl	_ZN7rocprim17ROCPRIM_400000_NS6detail17trampoline_kernelINS0_14default_configENS1_21merge_config_selectorIiNS0_10empty_typeEEEZNS1_10merge_implIS3_N6thrust23THRUST_200600_302600_NS6detail15normal_iteratorINS9_10device_ptrIKiEEEESF_NSB_INSC_IiEEEEPS5_SI_SI_NS9_4lessIiEEEE10hipError_tPvRmT0_T1_T2_T3_T4_T5_mmT6_P12ihipStream_tbEUlT_E0_NS1_11comp_targetILNS1_3genE2ELNS1_11target_archE906ELNS1_3gpuE6ELNS1_3repE0EEENS1_30default_config_static_selectorELNS0_4arch9wavefront6targetE1EEEvSP_
	.p2align	8
	.type	_ZN7rocprim17ROCPRIM_400000_NS6detail17trampoline_kernelINS0_14default_configENS1_21merge_config_selectorIiNS0_10empty_typeEEEZNS1_10merge_implIS3_N6thrust23THRUST_200600_302600_NS6detail15normal_iteratorINS9_10device_ptrIKiEEEESF_NSB_INSC_IiEEEEPS5_SI_SI_NS9_4lessIiEEEE10hipError_tPvRmT0_T1_T2_T3_T4_T5_mmT6_P12ihipStream_tbEUlT_E0_NS1_11comp_targetILNS1_3genE2ELNS1_11target_archE906ELNS1_3gpuE6ELNS1_3repE0EEENS1_30default_config_static_selectorELNS0_4arch9wavefront6targetE1EEEvSP_,@function
_ZN7rocprim17ROCPRIM_400000_NS6detail17trampoline_kernelINS0_14default_configENS1_21merge_config_selectorIiNS0_10empty_typeEEEZNS1_10merge_implIS3_N6thrust23THRUST_200600_302600_NS6detail15normal_iteratorINS9_10device_ptrIKiEEEESF_NSB_INSC_IiEEEEPS5_SI_SI_NS9_4lessIiEEEE10hipError_tPvRmT0_T1_T2_T3_T4_T5_mmT6_P12ihipStream_tbEUlT_E0_NS1_11comp_targetILNS1_3genE2ELNS1_11target_archE906ELNS1_3gpuE6ELNS1_3repE0EEENS1_30default_config_static_selectorELNS0_4arch9wavefront6targetE1EEEvSP_: ; @_ZN7rocprim17ROCPRIM_400000_NS6detail17trampoline_kernelINS0_14default_configENS1_21merge_config_selectorIiNS0_10empty_typeEEEZNS1_10merge_implIS3_N6thrust23THRUST_200600_302600_NS6detail15normal_iteratorINS9_10device_ptrIKiEEEESF_NSB_INSC_IiEEEEPS5_SI_SI_NS9_4lessIiEEEE10hipError_tPvRmT0_T1_T2_T3_T4_T5_mmT6_P12ihipStream_tbEUlT_E0_NS1_11comp_targetILNS1_3genE2ELNS1_11target_archE906ELNS1_3gpuE6ELNS1_3repE0EEENS1_30default_config_static_selectorELNS0_4arch9wavefront6targetE1EEEvSP_
; %bb.0:
	.section	.rodata,"a",@progbits
	.p2align	6, 0x0
	.amdhsa_kernel _ZN7rocprim17ROCPRIM_400000_NS6detail17trampoline_kernelINS0_14default_configENS1_21merge_config_selectorIiNS0_10empty_typeEEEZNS1_10merge_implIS3_N6thrust23THRUST_200600_302600_NS6detail15normal_iteratorINS9_10device_ptrIKiEEEESF_NSB_INSC_IiEEEEPS5_SI_SI_NS9_4lessIiEEEE10hipError_tPvRmT0_T1_T2_T3_T4_T5_mmT6_P12ihipStream_tbEUlT_E0_NS1_11comp_targetILNS1_3genE2ELNS1_11target_archE906ELNS1_3gpuE6ELNS1_3repE0EEENS1_30default_config_static_selectorELNS0_4arch9wavefront6targetE1EEEvSP_
		.amdhsa_group_segment_fixed_size 0
		.amdhsa_private_segment_fixed_size 0
		.amdhsa_kernarg_size 88
		.amdhsa_user_sgpr_count 6
		.amdhsa_user_sgpr_private_segment_buffer 1
		.amdhsa_user_sgpr_dispatch_ptr 0
		.amdhsa_user_sgpr_queue_ptr 0
		.amdhsa_user_sgpr_kernarg_segment_ptr 1
		.amdhsa_user_sgpr_dispatch_id 0
		.amdhsa_user_sgpr_flat_scratch_init 0
		.amdhsa_user_sgpr_kernarg_preload_length 0
		.amdhsa_user_sgpr_kernarg_preload_offset 0
		.amdhsa_user_sgpr_private_segment_size 0
		.amdhsa_uses_dynamic_stack 0
		.amdhsa_system_sgpr_private_segment_wavefront_offset 0
		.amdhsa_system_sgpr_workgroup_id_x 1
		.amdhsa_system_sgpr_workgroup_id_y 0
		.amdhsa_system_sgpr_workgroup_id_z 0
		.amdhsa_system_sgpr_workgroup_info 0
		.amdhsa_system_vgpr_workitem_id 0
		.amdhsa_next_free_vgpr 1
		.amdhsa_next_free_sgpr 0
		.amdhsa_accum_offset 4
		.amdhsa_reserve_vcc 0
		.amdhsa_reserve_flat_scratch 0
		.amdhsa_float_round_mode_32 0
		.amdhsa_float_round_mode_16_64 0
		.amdhsa_float_denorm_mode_32 3
		.amdhsa_float_denorm_mode_16_64 3
		.amdhsa_dx10_clamp 1
		.amdhsa_ieee_mode 1
		.amdhsa_fp16_overflow 0
		.amdhsa_tg_split 0
		.amdhsa_exception_fp_ieee_invalid_op 0
		.amdhsa_exception_fp_denorm_src 0
		.amdhsa_exception_fp_ieee_div_zero 0
		.amdhsa_exception_fp_ieee_overflow 0
		.amdhsa_exception_fp_ieee_underflow 0
		.amdhsa_exception_fp_ieee_inexact 0
		.amdhsa_exception_int_div_zero 0
	.end_amdhsa_kernel
	.section	.text._ZN7rocprim17ROCPRIM_400000_NS6detail17trampoline_kernelINS0_14default_configENS1_21merge_config_selectorIiNS0_10empty_typeEEEZNS1_10merge_implIS3_N6thrust23THRUST_200600_302600_NS6detail15normal_iteratorINS9_10device_ptrIKiEEEESF_NSB_INSC_IiEEEEPS5_SI_SI_NS9_4lessIiEEEE10hipError_tPvRmT0_T1_T2_T3_T4_T5_mmT6_P12ihipStream_tbEUlT_E0_NS1_11comp_targetILNS1_3genE2ELNS1_11target_archE906ELNS1_3gpuE6ELNS1_3repE0EEENS1_30default_config_static_selectorELNS0_4arch9wavefront6targetE1EEEvSP_,"axG",@progbits,_ZN7rocprim17ROCPRIM_400000_NS6detail17trampoline_kernelINS0_14default_configENS1_21merge_config_selectorIiNS0_10empty_typeEEEZNS1_10merge_implIS3_N6thrust23THRUST_200600_302600_NS6detail15normal_iteratorINS9_10device_ptrIKiEEEESF_NSB_INSC_IiEEEEPS5_SI_SI_NS9_4lessIiEEEE10hipError_tPvRmT0_T1_T2_T3_T4_T5_mmT6_P12ihipStream_tbEUlT_E0_NS1_11comp_targetILNS1_3genE2ELNS1_11target_archE906ELNS1_3gpuE6ELNS1_3repE0EEENS1_30default_config_static_selectorELNS0_4arch9wavefront6targetE1EEEvSP_,comdat
.Lfunc_end14:
	.size	_ZN7rocprim17ROCPRIM_400000_NS6detail17trampoline_kernelINS0_14default_configENS1_21merge_config_selectorIiNS0_10empty_typeEEEZNS1_10merge_implIS3_N6thrust23THRUST_200600_302600_NS6detail15normal_iteratorINS9_10device_ptrIKiEEEESF_NSB_INSC_IiEEEEPS5_SI_SI_NS9_4lessIiEEEE10hipError_tPvRmT0_T1_T2_T3_T4_T5_mmT6_P12ihipStream_tbEUlT_E0_NS1_11comp_targetILNS1_3genE2ELNS1_11target_archE906ELNS1_3gpuE6ELNS1_3repE0EEENS1_30default_config_static_selectorELNS0_4arch9wavefront6targetE1EEEvSP_, .Lfunc_end14-_ZN7rocprim17ROCPRIM_400000_NS6detail17trampoline_kernelINS0_14default_configENS1_21merge_config_selectorIiNS0_10empty_typeEEEZNS1_10merge_implIS3_N6thrust23THRUST_200600_302600_NS6detail15normal_iteratorINS9_10device_ptrIKiEEEESF_NSB_INSC_IiEEEEPS5_SI_SI_NS9_4lessIiEEEE10hipError_tPvRmT0_T1_T2_T3_T4_T5_mmT6_P12ihipStream_tbEUlT_E0_NS1_11comp_targetILNS1_3genE2ELNS1_11target_archE906ELNS1_3gpuE6ELNS1_3repE0EEENS1_30default_config_static_selectorELNS0_4arch9wavefront6targetE1EEEvSP_
                                        ; -- End function
	.section	.AMDGPU.csdata,"",@progbits
; Kernel info:
; codeLenInByte = 0
; NumSgprs: 4
; NumVgprs: 0
; NumAgprs: 0
; TotalNumVgprs: 0
; ScratchSize: 0
; MemoryBound: 0
; FloatMode: 240
; IeeeMode: 1
; LDSByteSize: 0 bytes/workgroup (compile time only)
; SGPRBlocks: 0
; VGPRBlocks: 0
; NumSGPRsForWavesPerEU: 4
; NumVGPRsForWavesPerEU: 1
; AccumOffset: 4
; Occupancy: 8
; WaveLimiterHint : 0
; COMPUTE_PGM_RSRC2:SCRATCH_EN: 0
; COMPUTE_PGM_RSRC2:USER_SGPR: 6
; COMPUTE_PGM_RSRC2:TRAP_HANDLER: 0
; COMPUTE_PGM_RSRC2:TGID_X_EN: 1
; COMPUTE_PGM_RSRC2:TGID_Y_EN: 0
; COMPUTE_PGM_RSRC2:TGID_Z_EN: 0
; COMPUTE_PGM_RSRC2:TIDIG_COMP_CNT: 0
; COMPUTE_PGM_RSRC3_GFX90A:ACCUM_OFFSET: 0
; COMPUTE_PGM_RSRC3_GFX90A:TG_SPLIT: 0
	.section	.text._ZN7rocprim17ROCPRIM_400000_NS6detail17trampoline_kernelINS0_14default_configENS1_21merge_config_selectorIiNS0_10empty_typeEEEZNS1_10merge_implIS3_N6thrust23THRUST_200600_302600_NS6detail15normal_iteratorINS9_10device_ptrIKiEEEESF_NSB_INSC_IiEEEEPS5_SI_SI_NS9_4lessIiEEEE10hipError_tPvRmT0_T1_T2_T3_T4_T5_mmT6_P12ihipStream_tbEUlT_E0_NS1_11comp_targetILNS1_3genE10ELNS1_11target_archE1201ELNS1_3gpuE5ELNS1_3repE0EEENS1_30default_config_static_selectorELNS0_4arch9wavefront6targetE1EEEvSP_,"axG",@progbits,_ZN7rocprim17ROCPRIM_400000_NS6detail17trampoline_kernelINS0_14default_configENS1_21merge_config_selectorIiNS0_10empty_typeEEEZNS1_10merge_implIS3_N6thrust23THRUST_200600_302600_NS6detail15normal_iteratorINS9_10device_ptrIKiEEEESF_NSB_INSC_IiEEEEPS5_SI_SI_NS9_4lessIiEEEE10hipError_tPvRmT0_T1_T2_T3_T4_T5_mmT6_P12ihipStream_tbEUlT_E0_NS1_11comp_targetILNS1_3genE10ELNS1_11target_archE1201ELNS1_3gpuE5ELNS1_3repE0EEENS1_30default_config_static_selectorELNS0_4arch9wavefront6targetE1EEEvSP_,comdat
	.protected	_ZN7rocprim17ROCPRIM_400000_NS6detail17trampoline_kernelINS0_14default_configENS1_21merge_config_selectorIiNS0_10empty_typeEEEZNS1_10merge_implIS3_N6thrust23THRUST_200600_302600_NS6detail15normal_iteratorINS9_10device_ptrIKiEEEESF_NSB_INSC_IiEEEEPS5_SI_SI_NS9_4lessIiEEEE10hipError_tPvRmT0_T1_T2_T3_T4_T5_mmT6_P12ihipStream_tbEUlT_E0_NS1_11comp_targetILNS1_3genE10ELNS1_11target_archE1201ELNS1_3gpuE5ELNS1_3repE0EEENS1_30default_config_static_selectorELNS0_4arch9wavefront6targetE1EEEvSP_ ; -- Begin function _ZN7rocprim17ROCPRIM_400000_NS6detail17trampoline_kernelINS0_14default_configENS1_21merge_config_selectorIiNS0_10empty_typeEEEZNS1_10merge_implIS3_N6thrust23THRUST_200600_302600_NS6detail15normal_iteratorINS9_10device_ptrIKiEEEESF_NSB_INSC_IiEEEEPS5_SI_SI_NS9_4lessIiEEEE10hipError_tPvRmT0_T1_T2_T3_T4_T5_mmT6_P12ihipStream_tbEUlT_E0_NS1_11comp_targetILNS1_3genE10ELNS1_11target_archE1201ELNS1_3gpuE5ELNS1_3repE0EEENS1_30default_config_static_selectorELNS0_4arch9wavefront6targetE1EEEvSP_
	.globl	_ZN7rocprim17ROCPRIM_400000_NS6detail17trampoline_kernelINS0_14default_configENS1_21merge_config_selectorIiNS0_10empty_typeEEEZNS1_10merge_implIS3_N6thrust23THRUST_200600_302600_NS6detail15normal_iteratorINS9_10device_ptrIKiEEEESF_NSB_INSC_IiEEEEPS5_SI_SI_NS9_4lessIiEEEE10hipError_tPvRmT0_T1_T2_T3_T4_T5_mmT6_P12ihipStream_tbEUlT_E0_NS1_11comp_targetILNS1_3genE10ELNS1_11target_archE1201ELNS1_3gpuE5ELNS1_3repE0EEENS1_30default_config_static_selectorELNS0_4arch9wavefront6targetE1EEEvSP_
	.p2align	8
	.type	_ZN7rocprim17ROCPRIM_400000_NS6detail17trampoline_kernelINS0_14default_configENS1_21merge_config_selectorIiNS0_10empty_typeEEEZNS1_10merge_implIS3_N6thrust23THRUST_200600_302600_NS6detail15normal_iteratorINS9_10device_ptrIKiEEEESF_NSB_INSC_IiEEEEPS5_SI_SI_NS9_4lessIiEEEE10hipError_tPvRmT0_T1_T2_T3_T4_T5_mmT6_P12ihipStream_tbEUlT_E0_NS1_11comp_targetILNS1_3genE10ELNS1_11target_archE1201ELNS1_3gpuE5ELNS1_3repE0EEENS1_30default_config_static_selectorELNS0_4arch9wavefront6targetE1EEEvSP_,@function
_ZN7rocprim17ROCPRIM_400000_NS6detail17trampoline_kernelINS0_14default_configENS1_21merge_config_selectorIiNS0_10empty_typeEEEZNS1_10merge_implIS3_N6thrust23THRUST_200600_302600_NS6detail15normal_iteratorINS9_10device_ptrIKiEEEESF_NSB_INSC_IiEEEEPS5_SI_SI_NS9_4lessIiEEEE10hipError_tPvRmT0_T1_T2_T3_T4_T5_mmT6_P12ihipStream_tbEUlT_E0_NS1_11comp_targetILNS1_3genE10ELNS1_11target_archE1201ELNS1_3gpuE5ELNS1_3repE0EEENS1_30default_config_static_selectorELNS0_4arch9wavefront6targetE1EEEvSP_: ; @_ZN7rocprim17ROCPRIM_400000_NS6detail17trampoline_kernelINS0_14default_configENS1_21merge_config_selectorIiNS0_10empty_typeEEEZNS1_10merge_implIS3_N6thrust23THRUST_200600_302600_NS6detail15normal_iteratorINS9_10device_ptrIKiEEEESF_NSB_INSC_IiEEEEPS5_SI_SI_NS9_4lessIiEEEE10hipError_tPvRmT0_T1_T2_T3_T4_T5_mmT6_P12ihipStream_tbEUlT_E0_NS1_11comp_targetILNS1_3genE10ELNS1_11target_archE1201ELNS1_3gpuE5ELNS1_3repE0EEENS1_30default_config_static_selectorELNS0_4arch9wavefront6targetE1EEEvSP_
; %bb.0:
	.section	.rodata,"a",@progbits
	.p2align	6, 0x0
	.amdhsa_kernel _ZN7rocprim17ROCPRIM_400000_NS6detail17trampoline_kernelINS0_14default_configENS1_21merge_config_selectorIiNS0_10empty_typeEEEZNS1_10merge_implIS3_N6thrust23THRUST_200600_302600_NS6detail15normal_iteratorINS9_10device_ptrIKiEEEESF_NSB_INSC_IiEEEEPS5_SI_SI_NS9_4lessIiEEEE10hipError_tPvRmT0_T1_T2_T3_T4_T5_mmT6_P12ihipStream_tbEUlT_E0_NS1_11comp_targetILNS1_3genE10ELNS1_11target_archE1201ELNS1_3gpuE5ELNS1_3repE0EEENS1_30default_config_static_selectorELNS0_4arch9wavefront6targetE1EEEvSP_
		.amdhsa_group_segment_fixed_size 0
		.amdhsa_private_segment_fixed_size 0
		.amdhsa_kernarg_size 88
		.amdhsa_user_sgpr_count 6
		.amdhsa_user_sgpr_private_segment_buffer 1
		.amdhsa_user_sgpr_dispatch_ptr 0
		.amdhsa_user_sgpr_queue_ptr 0
		.amdhsa_user_sgpr_kernarg_segment_ptr 1
		.amdhsa_user_sgpr_dispatch_id 0
		.amdhsa_user_sgpr_flat_scratch_init 0
		.amdhsa_user_sgpr_kernarg_preload_length 0
		.amdhsa_user_sgpr_kernarg_preload_offset 0
		.amdhsa_user_sgpr_private_segment_size 0
		.amdhsa_uses_dynamic_stack 0
		.amdhsa_system_sgpr_private_segment_wavefront_offset 0
		.amdhsa_system_sgpr_workgroup_id_x 1
		.amdhsa_system_sgpr_workgroup_id_y 0
		.amdhsa_system_sgpr_workgroup_id_z 0
		.amdhsa_system_sgpr_workgroup_info 0
		.amdhsa_system_vgpr_workitem_id 0
		.amdhsa_next_free_vgpr 1
		.amdhsa_next_free_sgpr 0
		.amdhsa_accum_offset 4
		.amdhsa_reserve_vcc 0
		.amdhsa_reserve_flat_scratch 0
		.amdhsa_float_round_mode_32 0
		.amdhsa_float_round_mode_16_64 0
		.amdhsa_float_denorm_mode_32 3
		.amdhsa_float_denorm_mode_16_64 3
		.amdhsa_dx10_clamp 1
		.amdhsa_ieee_mode 1
		.amdhsa_fp16_overflow 0
		.amdhsa_tg_split 0
		.amdhsa_exception_fp_ieee_invalid_op 0
		.amdhsa_exception_fp_denorm_src 0
		.amdhsa_exception_fp_ieee_div_zero 0
		.amdhsa_exception_fp_ieee_overflow 0
		.amdhsa_exception_fp_ieee_underflow 0
		.amdhsa_exception_fp_ieee_inexact 0
		.amdhsa_exception_int_div_zero 0
	.end_amdhsa_kernel
	.section	.text._ZN7rocprim17ROCPRIM_400000_NS6detail17trampoline_kernelINS0_14default_configENS1_21merge_config_selectorIiNS0_10empty_typeEEEZNS1_10merge_implIS3_N6thrust23THRUST_200600_302600_NS6detail15normal_iteratorINS9_10device_ptrIKiEEEESF_NSB_INSC_IiEEEEPS5_SI_SI_NS9_4lessIiEEEE10hipError_tPvRmT0_T1_T2_T3_T4_T5_mmT6_P12ihipStream_tbEUlT_E0_NS1_11comp_targetILNS1_3genE10ELNS1_11target_archE1201ELNS1_3gpuE5ELNS1_3repE0EEENS1_30default_config_static_selectorELNS0_4arch9wavefront6targetE1EEEvSP_,"axG",@progbits,_ZN7rocprim17ROCPRIM_400000_NS6detail17trampoline_kernelINS0_14default_configENS1_21merge_config_selectorIiNS0_10empty_typeEEEZNS1_10merge_implIS3_N6thrust23THRUST_200600_302600_NS6detail15normal_iteratorINS9_10device_ptrIKiEEEESF_NSB_INSC_IiEEEEPS5_SI_SI_NS9_4lessIiEEEE10hipError_tPvRmT0_T1_T2_T3_T4_T5_mmT6_P12ihipStream_tbEUlT_E0_NS1_11comp_targetILNS1_3genE10ELNS1_11target_archE1201ELNS1_3gpuE5ELNS1_3repE0EEENS1_30default_config_static_selectorELNS0_4arch9wavefront6targetE1EEEvSP_,comdat
.Lfunc_end15:
	.size	_ZN7rocprim17ROCPRIM_400000_NS6detail17trampoline_kernelINS0_14default_configENS1_21merge_config_selectorIiNS0_10empty_typeEEEZNS1_10merge_implIS3_N6thrust23THRUST_200600_302600_NS6detail15normal_iteratorINS9_10device_ptrIKiEEEESF_NSB_INSC_IiEEEEPS5_SI_SI_NS9_4lessIiEEEE10hipError_tPvRmT0_T1_T2_T3_T4_T5_mmT6_P12ihipStream_tbEUlT_E0_NS1_11comp_targetILNS1_3genE10ELNS1_11target_archE1201ELNS1_3gpuE5ELNS1_3repE0EEENS1_30default_config_static_selectorELNS0_4arch9wavefront6targetE1EEEvSP_, .Lfunc_end15-_ZN7rocprim17ROCPRIM_400000_NS6detail17trampoline_kernelINS0_14default_configENS1_21merge_config_selectorIiNS0_10empty_typeEEEZNS1_10merge_implIS3_N6thrust23THRUST_200600_302600_NS6detail15normal_iteratorINS9_10device_ptrIKiEEEESF_NSB_INSC_IiEEEEPS5_SI_SI_NS9_4lessIiEEEE10hipError_tPvRmT0_T1_T2_T3_T4_T5_mmT6_P12ihipStream_tbEUlT_E0_NS1_11comp_targetILNS1_3genE10ELNS1_11target_archE1201ELNS1_3gpuE5ELNS1_3repE0EEENS1_30default_config_static_selectorELNS0_4arch9wavefront6targetE1EEEvSP_
                                        ; -- End function
	.section	.AMDGPU.csdata,"",@progbits
; Kernel info:
; codeLenInByte = 0
; NumSgprs: 4
; NumVgprs: 0
; NumAgprs: 0
; TotalNumVgprs: 0
; ScratchSize: 0
; MemoryBound: 0
; FloatMode: 240
; IeeeMode: 1
; LDSByteSize: 0 bytes/workgroup (compile time only)
; SGPRBlocks: 0
; VGPRBlocks: 0
; NumSGPRsForWavesPerEU: 4
; NumVGPRsForWavesPerEU: 1
; AccumOffset: 4
; Occupancy: 8
; WaveLimiterHint : 0
; COMPUTE_PGM_RSRC2:SCRATCH_EN: 0
; COMPUTE_PGM_RSRC2:USER_SGPR: 6
; COMPUTE_PGM_RSRC2:TRAP_HANDLER: 0
; COMPUTE_PGM_RSRC2:TGID_X_EN: 1
; COMPUTE_PGM_RSRC2:TGID_Y_EN: 0
; COMPUTE_PGM_RSRC2:TGID_Z_EN: 0
; COMPUTE_PGM_RSRC2:TIDIG_COMP_CNT: 0
; COMPUTE_PGM_RSRC3_GFX90A:ACCUM_OFFSET: 0
; COMPUTE_PGM_RSRC3_GFX90A:TG_SPLIT: 0
	.section	.text._ZN7rocprim17ROCPRIM_400000_NS6detail17trampoline_kernelINS0_14default_configENS1_21merge_config_selectorIiNS0_10empty_typeEEEZNS1_10merge_implIS3_N6thrust23THRUST_200600_302600_NS6detail15normal_iteratorINS9_10device_ptrIKiEEEESF_NSB_INSC_IiEEEEPS5_SI_SI_NS9_4lessIiEEEE10hipError_tPvRmT0_T1_T2_T3_T4_T5_mmT6_P12ihipStream_tbEUlT_E0_NS1_11comp_targetILNS1_3genE10ELNS1_11target_archE1200ELNS1_3gpuE4ELNS1_3repE0EEENS1_30default_config_static_selectorELNS0_4arch9wavefront6targetE1EEEvSP_,"axG",@progbits,_ZN7rocprim17ROCPRIM_400000_NS6detail17trampoline_kernelINS0_14default_configENS1_21merge_config_selectorIiNS0_10empty_typeEEEZNS1_10merge_implIS3_N6thrust23THRUST_200600_302600_NS6detail15normal_iteratorINS9_10device_ptrIKiEEEESF_NSB_INSC_IiEEEEPS5_SI_SI_NS9_4lessIiEEEE10hipError_tPvRmT0_T1_T2_T3_T4_T5_mmT6_P12ihipStream_tbEUlT_E0_NS1_11comp_targetILNS1_3genE10ELNS1_11target_archE1200ELNS1_3gpuE4ELNS1_3repE0EEENS1_30default_config_static_selectorELNS0_4arch9wavefront6targetE1EEEvSP_,comdat
	.protected	_ZN7rocprim17ROCPRIM_400000_NS6detail17trampoline_kernelINS0_14default_configENS1_21merge_config_selectorIiNS0_10empty_typeEEEZNS1_10merge_implIS3_N6thrust23THRUST_200600_302600_NS6detail15normal_iteratorINS9_10device_ptrIKiEEEESF_NSB_INSC_IiEEEEPS5_SI_SI_NS9_4lessIiEEEE10hipError_tPvRmT0_T1_T2_T3_T4_T5_mmT6_P12ihipStream_tbEUlT_E0_NS1_11comp_targetILNS1_3genE10ELNS1_11target_archE1200ELNS1_3gpuE4ELNS1_3repE0EEENS1_30default_config_static_selectorELNS0_4arch9wavefront6targetE1EEEvSP_ ; -- Begin function _ZN7rocprim17ROCPRIM_400000_NS6detail17trampoline_kernelINS0_14default_configENS1_21merge_config_selectorIiNS0_10empty_typeEEEZNS1_10merge_implIS3_N6thrust23THRUST_200600_302600_NS6detail15normal_iteratorINS9_10device_ptrIKiEEEESF_NSB_INSC_IiEEEEPS5_SI_SI_NS9_4lessIiEEEE10hipError_tPvRmT0_T1_T2_T3_T4_T5_mmT6_P12ihipStream_tbEUlT_E0_NS1_11comp_targetILNS1_3genE10ELNS1_11target_archE1200ELNS1_3gpuE4ELNS1_3repE0EEENS1_30default_config_static_selectorELNS0_4arch9wavefront6targetE1EEEvSP_
	.globl	_ZN7rocprim17ROCPRIM_400000_NS6detail17trampoline_kernelINS0_14default_configENS1_21merge_config_selectorIiNS0_10empty_typeEEEZNS1_10merge_implIS3_N6thrust23THRUST_200600_302600_NS6detail15normal_iteratorINS9_10device_ptrIKiEEEESF_NSB_INSC_IiEEEEPS5_SI_SI_NS9_4lessIiEEEE10hipError_tPvRmT0_T1_T2_T3_T4_T5_mmT6_P12ihipStream_tbEUlT_E0_NS1_11comp_targetILNS1_3genE10ELNS1_11target_archE1200ELNS1_3gpuE4ELNS1_3repE0EEENS1_30default_config_static_selectorELNS0_4arch9wavefront6targetE1EEEvSP_
	.p2align	8
	.type	_ZN7rocprim17ROCPRIM_400000_NS6detail17trampoline_kernelINS0_14default_configENS1_21merge_config_selectorIiNS0_10empty_typeEEEZNS1_10merge_implIS3_N6thrust23THRUST_200600_302600_NS6detail15normal_iteratorINS9_10device_ptrIKiEEEESF_NSB_INSC_IiEEEEPS5_SI_SI_NS9_4lessIiEEEE10hipError_tPvRmT0_T1_T2_T3_T4_T5_mmT6_P12ihipStream_tbEUlT_E0_NS1_11comp_targetILNS1_3genE10ELNS1_11target_archE1200ELNS1_3gpuE4ELNS1_3repE0EEENS1_30default_config_static_selectorELNS0_4arch9wavefront6targetE1EEEvSP_,@function
_ZN7rocprim17ROCPRIM_400000_NS6detail17trampoline_kernelINS0_14default_configENS1_21merge_config_selectorIiNS0_10empty_typeEEEZNS1_10merge_implIS3_N6thrust23THRUST_200600_302600_NS6detail15normal_iteratorINS9_10device_ptrIKiEEEESF_NSB_INSC_IiEEEEPS5_SI_SI_NS9_4lessIiEEEE10hipError_tPvRmT0_T1_T2_T3_T4_T5_mmT6_P12ihipStream_tbEUlT_E0_NS1_11comp_targetILNS1_3genE10ELNS1_11target_archE1200ELNS1_3gpuE4ELNS1_3repE0EEENS1_30default_config_static_selectorELNS0_4arch9wavefront6targetE1EEEvSP_: ; @_ZN7rocprim17ROCPRIM_400000_NS6detail17trampoline_kernelINS0_14default_configENS1_21merge_config_selectorIiNS0_10empty_typeEEEZNS1_10merge_implIS3_N6thrust23THRUST_200600_302600_NS6detail15normal_iteratorINS9_10device_ptrIKiEEEESF_NSB_INSC_IiEEEEPS5_SI_SI_NS9_4lessIiEEEE10hipError_tPvRmT0_T1_T2_T3_T4_T5_mmT6_P12ihipStream_tbEUlT_E0_NS1_11comp_targetILNS1_3genE10ELNS1_11target_archE1200ELNS1_3gpuE4ELNS1_3repE0EEENS1_30default_config_static_selectorELNS0_4arch9wavefront6targetE1EEEvSP_
; %bb.0:
	.section	.rodata,"a",@progbits
	.p2align	6, 0x0
	.amdhsa_kernel _ZN7rocprim17ROCPRIM_400000_NS6detail17trampoline_kernelINS0_14default_configENS1_21merge_config_selectorIiNS0_10empty_typeEEEZNS1_10merge_implIS3_N6thrust23THRUST_200600_302600_NS6detail15normal_iteratorINS9_10device_ptrIKiEEEESF_NSB_INSC_IiEEEEPS5_SI_SI_NS9_4lessIiEEEE10hipError_tPvRmT0_T1_T2_T3_T4_T5_mmT6_P12ihipStream_tbEUlT_E0_NS1_11comp_targetILNS1_3genE10ELNS1_11target_archE1200ELNS1_3gpuE4ELNS1_3repE0EEENS1_30default_config_static_selectorELNS0_4arch9wavefront6targetE1EEEvSP_
		.amdhsa_group_segment_fixed_size 0
		.amdhsa_private_segment_fixed_size 0
		.amdhsa_kernarg_size 88
		.amdhsa_user_sgpr_count 6
		.amdhsa_user_sgpr_private_segment_buffer 1
		.amdhsa_user_sgpr_dispatch_ptr 0
		.amdhsa_user_sgpr_queue_ptr 0
		.amdhsa_user_sgpr_kernarg_segment_ptr 1
		.amdhsa_user_sgpr_dispatch_id 0
		.amdhsa_user_sgpr_flat_scratch_init 0
		.amdhsa_user_sgpr_kernarg_preload_length 0
		.amdhsa_user_sgpr_kernarg_preload_offset 0
		.amdhsa_user_sgpr_private_segment_size 0
		.amdhsa_uses_dynamic_stack 0
		.amdhsa_system_sgpr_private_segment_wavefront_offset 0
		.amdhsa_system_sgpr_workgroup_id_x 1
		.amdhsa_system_sgpr_workgroup_id_y 0
		.amdhsa_system_sgpr_workgroup_id_z 0
		.amdhsa_system_sgpr_workgroup_info 0
		.amdhsa_system_vgpr_workitem_id 0
		.amdhsa_next_free_vgpr 1
		.amdhsa_next_free_sgpr 0
		.amdhsa_accum_offset 4
		.amdhsa_reserve_vcc 0
		.amdhsa_reserve_flat_scratch 0
		.amdhsa_float_round_mode_32 0
		.amdhsa_float_round_mode_16_64 0
		.amdhsa_float_denorm_mode_32 3
		.amdhsa_float_denorm_mode_16_64 3
		.amdhsa_dx10_clamp 1
		.amdhsa_ieee_mode 1
		.amdhsa_fp16_overflow 0
		.amdhsa_tg_split 0
		.amdhsa_exception_fp_ieee_invalid_op 0
		.amdhsa_exception_fp_denorm_src 0
		.amdhsa_exception_fp_ieee_div_zero 0
		.amdhsa_exception_fp_ieee_overflow 0
		.amdhsa_exception_fp_ieee_underflow 0
		.amdhsa_exception_fp_ieee_inexact 0
		.amdhsa_exception_int_div_zero 0
	.end_amdhsa_kernel
	.section	.text._ZN7rocprim17ROCPRIM_400000_NS6detail17trampoline_kernelINS0_14default_configENS1_21merge_config_selectorIiNS0_10empty_typeEEEZNS1_10merge_implIS3_N6thrust23THRUST_200600_302600_NS6detail15normal_iteratorINS9_10device_ptrIKiEEEESF_NSB_INSC_IiEEEEPS5_SI_SI_NS9_4lessIiEEEE10hipError_tPvRmT0_T1_T2_T3_T4_T5_mmT6_P12ihipStream_tbEUlT_E0_NS1_11comp_targetILNS1_3genE10ELNS1_11target_archE1200ELNS1_3gpuE4ELNS1_3repE0EEENS1_30default_config_static_selectorELNS0_4arch9wavefront6targetE1EEEvSP_,"axG",@progbits,_ZN7rocprim17ROCPRIM_400000_NS6detail17trampoline_kernelINS0_14default_configENS1_21merge_config_selectorIiNS0_10empty_typeEEEZNS1_10merge_implIS3_N6thrust23THRUST_200600_302600_NS6detail15normal_iteratorINS9_10device_ptrIKiEEEESF_NSB_INSC_IiEEEEPS5_SI_SI_NS9_4lessIiEEEE10hipError_tPvRmT0_T1_T2_T3_T4_T5_mmT6_P12ihipStream_tbEUlT_E0_NS1_11comp_targetILNS1_3genE10ELNS1_11target_archE1200ELNS1_3gpuE4ELNS1_3repE0EEENS1_30default_config_static_selectorELNS0_4arch9wavefront6targetE1EEEvSP_,comdat
.Lfunc_end16:
	.size	_ZN7rocprim17ROCPRIM_400000_NS6detail17trampoline_kernelINS0_14default_configENS1_21merge_config_selectorIiNS0_10empty_typeEEEZNS1_10merge_implIS3_N6thrust23THRUST_200600_302600_NS6detail15normal_iteratorINS9_10device_ptrIKiEEEESF_NSB_INSC_IiEEEEPS5_SI_SI_NS9_4lessIiEEEE10hipError_tPvRmT0_T1_T2_T3_T4_T5_mmT6_P12ihipStream_tbEUlT_E0_NS1_11comp_targetILNS1_3genE10ELNS1_11target_archE1200ELNS1_3gpuE4ELNS1_3repE0EEENS1_30default_config_static_selectorELNS0_4arch9wavefront6targetE1EEEvSP_, .Lfunc_end16-_ZN7rocprim17ROCPRIM_400000_NS6detail17trampoline_kernelINS0_14default_configENS1_21merge_config_selectorIiNS0_10empty_typeEEEZNS1_10merge_implIS3_N6thrust23THRUST_200600_302600_NS6detail15normal_iteratorINS9_10device_ptrIKiEEEESF_NSB_INSC_IiEEEEPS5_SI_SI_NS9_4lessIiEEEE10hipError_tPvRmT0_T1_T2_T3_T4_T5_mmT6_P12ihipStream_tbEUlT_E0_NS1_11comp_targetILNS1_3genE10ELNS1_11target_archE1200ELNS1_3gpuE4ELNS1_3repE0EEENS1_30default_config_static_selectorELNS0_4arch9wavefront6targetE1EEEvSP_
                                        ; -- End function
	.section	.AMDGPU.csdata,"",@progbits
; Kernel info:
; codeLenInByte = 0
; NumSgprs: 4
; NumVgprs: 0
; NumAgprs: 0
; TotalNumVgprs: 0
; ScratchSize: 0
; MemoryBound: 0
; FloatMode: 240
; IeeeMode: 1
; LDSByteSize: 0 bytes/workgroup (compile time only)
; SGPRBlocks: 0
; VGPRBlocks: 0
; NumSGPRsForWavesPerEU: 4
; NumVGPRsForWavesPerEU: 1
; AccumOffset: 4
; Occupancy: 8
; WaveLimiterHint : 0
; COMPUTE_PGM_RSRC2:SCRATCH_EN: 0
; COMPUTE_PGM_RSRC2:USER_SGPR: 6
; COMPUTE_PGM_RSRC2:TRAP_HANDLER: 0
; COMPUTE_PGM_RSRC2:TGID_X_EN: 1
; COMPUTE_PGM_RSRC2:TGID_Y_EN: 0
; COMPUTE_PGM_RSRC2:TGID_Z_EN: 0
; COMPUTE_PGM_RSRC2:TIDIG_COMP_CNT: 0
; COMPUTE_PGM_RSRC3_GFX90A:ACCUM_OFFSET: 0
; COMPUTE_PGM_RSRC3_GFX90A:TG_SPLIT: 0
	.section	.text._ZN7rocprim17ROCPRIM_400000_NS6detail17trampoline_kernelINS0_14default_configENS1_21merge_config_selectorIiNS0_10empty_typeEEEZNS1_10merge_implIS3_N6thrust23THRUST_200600_302600_NS6detail15normal_iteratorINS9_10device_ptrIKiEEEESF_NSB_INSC_IiEEEEPS5_SI_SI_NS9_4lessIiEEEE10hipError_tPvRmT0_T1_T2_T3_T4_T5_mmT6_P12ihipStream_tbEUlT_E0_NS1_11comp_targetILNS1_3genE9ELNS1_11target_archE1100ELNS1_3gpuE3ELNS1_3repE0EEENS1_30default_config_static_selectorELNS0_4arch9wavefront6targetE1EEEvSP_,"axG",@progbits,_ZN7rocprim17ROCPRIM_400000_NS6detail17trampoline_kernelINS0_14default_configENS1_21merge_config_selectorIiNS0_10empty_typeEEEZNS1_10merge_implIS3_N6thrust23THRUST_200600_302600_NS6detail15normal_iteratorINS9_10device_ptrIKiEEEESF_NSB_INSC_IiEEEEPS5_SI_SI_NS9_4lessIiEEEE10hipError_tPvRmT0_T1_T2_T3_T4_T5_mmT6_P12ihipStream_tbEUlT_E0_NS1_11comp_targetILNS1_3genE9ELNS1_11target_archE1100ELNS1_3gpuE3ELNS1_3repE0EEENS1_30default_config_static_selectorELNS0_4arch9wavefront6targetE1EEEvSP_,comdat
	.protected	_ZN7rocprim17ROCPRIM_400000_NS6detail17trampoline_kernelINS0_14default_configENS1_21merge_config_selectorIiNS0_10empty_typeEEEZNS1_10merge_implIS3_N6thrust23THRUST_200600_302600_NS6detail15normal_iteratorINS9_10device_ptrIKiEEEESF_NSB_INSC_IiEEEEPS5_SI_SI_NS9_4lessIiEEEE10hipError_tPvRmT0_T1_T2_T3_T4_T5_mmT6_P12ihipStream_tbEUlT_E0_NS1_11comp_targetILNS1_3genE9ELNS1_11target_archE1100ELNS1_3gpuE3ELNS1_3repE0EEENS1_30default_config_static_selectorELNS0_4arch9wavefront6targetE1EEEvSP_ ; -- Begin function _ZN7rocprim17ROCPRIM_400000_NS6detail17trampoline_kernelINS0_14default_configENS1_21merge_config_selectorIiNS0_10empty_typeEEEZNS1_10merge_implIS3_N6thrust23THRUST_200600_302600_NS6detail15normal_iteratorINS9_10device_ptrIKiEEEESF_NSB_INSC_IiEEEEPS5_SI_SI_NS9_4lessIiEEEE10hipError_tPvRmT0_T1_T2_T3_T4_T5_mmT6_P12ihipStream_tbEUlT_E0_NS1_11comp_targetILNS1_3genE9ELNS1_11target_archE1100ELNS1_3gpuE3ELNS1_3repE0EEENS1_30default_config_static_selectorELNS0_4arch9wavefront6targetE1EEEvSP_
	.globl	_ZN7rocprim17ROCPRIM_400000_NS6detail17trampoline_kernelINS0_14default_configENS1_21merge_config_selectorIiNS0_10empty_typeEEEZNS1_10merge_implIS3_N6thrust23THRUST_200600_302600_NS6detail15normal_iteratorINS9_10device_ptrIKiEEEESF_NSB_INSC_IiEEEEPS5_SI_SI_NS9_4lessIiEEEE10hipError_tPvRmT0_T1_T2_T3_T4_T5_mmT6_P12ihipStream_tbEUlT_E0_NS1_11comp_targetILNS1_3genE9ELNS1_11target_archE1100ELNS1_3gpuE3ELNS1_3repE0EEENS1_30default_config_static_selectorELNS0_4arch9wavefront6targetE1EEEvSP_
	.p2align	8
	.type	_ZN7rocprim17ROCPRIM_400000_NS6detail17trampoline_kernelINS0_14default_configENS1_21merge_config_selectorIiNS0_10empty_typeEEEZNS1_10merge_implIS3_N6thrust23THRUST_200600_302600_NS6detail15normal_iteratorINS9_10device_ptrIKiEEEESF_NSB_INSC_IiEEEEPS5_SI_SI_NS9_4lessIiEEEE10hipError_tPvRmT0_T1_T2_T3_T4_T5_mmT6_P12ihipStream_tbEUlT_E0_NS1_11comp_targetILNS1_3genE9ELNS1_11target_archE1100ELNS1_3gpuE3ELNS1_3repE0EEENS1_30default_config_static_selectorELNS0_4arch9wavefront6targetE1EEEvSP_,@function
_ZN7rocprim17ROCPRIM_400000_NS6detail17trampoline_kernelINS0_14default_configENS1_21merge_config_selectorIiNS0_10empty_typeEEEZNS1_10merge_implIS3_N6thrust23THRUST_200600_302600_NS6detail15normal_iteratorINS9_10device_ptrIKiEEEESF_NSB_INSC_IiEEEEPS5_SI_SI_NS9_4lessIiEEEE10hipError_tPvRmT0_T1_T2_T3_T4_T5_mmT6_P12ihipStream_tbEUlT_E0_NS1_11comp_targetILNS1_3genE9ELNS1_11target_archE1100ELNS1_3gpuE3ELNS1_3repE0EEENS1_30default_config_static_selectorELNS0_4arch9wavefront6targetE1EEEvSP_: ; @_ZN7rocprim17ROCPRIM_400000_NS6detail17trampoline_kernelINS0_14default_configENS1_21merge_config_selectorIiNS0_10empty_typeEEEZNS1_10merge_implIS3_N6thrust23THRUST_200600_302600_NS6detail15normal_iteratorINS9_10device_ptrIKiEEEESF_NSB_INSC_IiEEEEPS5_SI_SI_NS9_4lessIiEEEE10hipError_tPvRmT0_T1_T2_T3_T4_T5_mmT6_P12ihipStream_tbEUlT_E0_NS1_11comp_targetILNS1_3genE9ELNS1_11target_archE1100ELNS1_3gpuE3ELNS1_3repE0EEENS1_30default_config_static_selectorELNS0_4arch9wavefront6targetE1EEEvSP_
; %bb.0:
	.section	.rodata,"a",@progbits
	.p2align	6, 0x0
	.amdhsa_kernel _ZN7rocprim17ROCPRIM_400000_NS6detail17trampoline_kernelINS0_14default_configENS1_21merge_config_selectorIiNS0_10empty_typeEEEZNS1_10merge_implIS3_N6thrust23THRUST_200600_302600_NS6detail15normal_iteratorINS9_10device_ptrIKiEEEESF_NSB_INSC_IiEEEEPS5_SI_SI_NS9_4lessIiEEEE10hipError_tPvRmT0_T1_T2_T3_T4_T5_mmT6_P12ihipStream_tbEUlT_E0_NS1_11comp_targetILNS1_3genE9ELNS1_11target_archE1100ELNS1_3gpuE3ELNS1_3repE0EEENS1_30default_config_static_selectorELNS0_4arch9wavefront6targetE1EEEvSP_
		.amdhsa_group_segment_fixed_size 0
		.amdhsa_private_segment_fixed_size 0
		.amdhsa_kernarg_size 88
		.amdhsa_user_sgpr_count 6
		.amdhsa_user_sgpr_private_segment_buffer 1
		.amdhsa_user_sgpr_dispatch_ptr 0
		.amdhsa_user_sgpr_queue_ptr 0
		.amdhsa_user_sgpr_kernarg_segment_ptr 1
		.amdhsa_user_sgpr_dispatch_id 0
		.amdhsa_user_sgpr_flat_scratch_init 0
		.amdhsa_user_sgpr_kernarg_preload_length 0
		.amdhsa_user_sgpr_kernarg_preload_offset 0
		.amdhsa_user_sgpr_private_segment_size 0
		.amdhsa_uses_dynamic_stack 0
		.amdhsa_system_sgpr_private_segment_wavefront_offset 0
		.amdhsa_system_sgpr_workgroup_id_x 1
		.amdhsa_system_sgpr_workgroup_id_y 0
		.amdhsa_system_sgpr_workgroup_id_z 0
		.amdhsa_system_sgpr_workgroup_info 0
		.amdhsa_system_vgpr_workitem_id 0
		.amdhsa_next_free_vgpr 1
		.amdhsa_next_free_sgpr 0
		.amdhsa_accum_offset 4
		.amdhsa_reserve_vcc 0
		.amdhsa_reserve_flat_scratch 0
		.amdhsa_float_round_mode_32 0
		.amdhsa_float_round_mode_16_64 0
		.amdhsa_float_denorm_mode_32 3
		.amdhsa_float_denorm_mode_16_64 3
		.amdhsa_dx10_clamp 1
		.amdhsa_ieee_mode 1
		.amdhsa_fp16_overflow 0
		.amdhsa_tg_split 0
		.amdhsa_exception_fp_ieee_invalid_op 0
		.amdhsa_exception_fp_denorm_src 0
		.amdhsa_exception_fp_ieee_div_zero 0
		.amdhsa_exception_fp_ieee_overflow 0
		.amdhsa_exception_fp_ieee_underflow 0
		.amdhsa_exception_fp_ieee_inexact 0
		.amdhsa_exception_int_div_zero 0
	.end_amdhsa_kernel
	.section	.text._ZN7rocprim17ROCPRIM_400000_NS6detail17trampoline_kernelINS0_14default_configENS1_21merge_config_selectorIiNS0_10empty_typeEEEZNS1_10merge_implIS3_N6thrust23THRUST_200600_302600_NS6detail15normal_iteratorINS9_10device_ptrIKiEEEESF_NSB_INSC_IiEEEEPS5_SI_SI_NS9_4lessIiEEEE10hipError_tPvRmT0_T1_T2_T3_T4_T5_mmT6_P12ihipStream_tbEUlT_E0_NS1_11comp_targetILNS1_3genE9ELNS1_11target_archE1100ELNS1_3gpuE3ELNS1_3repE0EEENS1_30default_config_static_selectorELNS0_4arch9wavefront6targetE1EEEvSP_,"axG",@progbits,_ZN7rocprim17ROCPRIM_400000_NS6detail17trampoline_kernelINS0_14default_configENS1_21merge_config_selectorIiNS0_10empty_typeEEEZNS1_10merge_implIS3_N6thrust23THRUST_200600_302600_NS6detail15normal_iteratorINS9_10device_ptrIKiEEEESF_NSB_INSC_IiEEEEPS5_SI_SI_NS9_4lessIiEEEE10hipError_tPvRmT0_T1_T2_T3_T4_T5_mmT6_P12ihipStream_tbEUlT_E0_NS1_11comp_targetILNS1_3genE9ELNS1_11target_archE1100ELNS1_3gpuE3ELNS1_3repE0EEENS1_30default_config_static_selectorELNS0_4arch9wavefront6targetE1EEEvSP_,comdat
.Lfunc_end17:
	.size	_ZN7rocprim17ROCPRIM_400000_NS6detail17trampoline_kernelINS0_14default_configENS1_21merge_config_selectorIiNS0_10empty_typeEEEZNS1_10merge_implIS3_N6thrust23THRUST_200600_302600_NS6detail15normal_iteratorINS9_10device_ptrIKiEEEESF_NSB_INSC_IiEEEEPS5_SI_SI_NS9_4lessIiEEEE10hipError_tPvRmT0_T1_T2_T3_T4_T5_mmT6_P12ihipStream_tbEUlT_E0_NS1_11comp_targetILNS1_3genE9ELNS1_11target_archE1100ELNS1_3gpuE3ELNS1_3repE0EEENS1_30default_config_static_selectorELNS0_4arch9wavefront6targetE1EEEvSP_, .Lfunc_end17-_ZN7rocprim17ROCPRIM_400000_NS6detail17trampoline_kernelINS0_14default_configENS1_21merge_config_selectorIiNS0_10empty_typeEEEZNS1_10merge_implIS3_N6thrust23THRUST_200600_302600_NS6detail15normal_iteratorINS9_10device_ptrIKiEEEESF_NSB_INSC_IiEEEEPS5_SI_SI_NS9_4lessIiEEEE10hipError_tPvRmT0_T1_T2_T3_T4_T5_mmT6_P12ihipStream_tbEUlT_E0_NS1_11comp_targetILNS1_3genE9ELNS1_11target_archE1100ELNS1_3gpuE3ELNS1_3repE0EEENS1_30default_config_static_selectorELNS0_4arch9wavefront6targetE1EEEvSP_
                                        ; -- End function
	.section	.AMDGPU.csdata,"",@progbits
; Kernel info:
; codeLenInByte = 0
; NumSgprs: 4
; NumVgprs: 0
; NumAgprs: 0
; TotalNumVgprs: 0
; ScratchSize: 0
; MemoryBound: 0
; FloatMode: 240
; IeeeMode: 1
; LDSByteSize: 0 bytes/workgroup (compile time only)
; SGPRBlocks: 0
; VGPRBlocks: 0
; NumSGPRsForWavesPerEU: 4
; NumVGPRsForWavesPerEU: 1
; AccumOffset: 4
; Occupancy: 8
; WaveLimiterHint : 0
; COMPUTE_PGM_RSRC2:SCRATCH_EN: 0
; COMPUTE_PGM_RSRC2:USER_SGPR: 6
; COMPUTE_PGM_RSRC2:TRAP_HANDLER: 0
; COMPUTE_PGM_RSRC2:TGID_X_EN: 1
; COMPUTE_PGM_RSRC2:TGID_Y_EN: 0
; COMPUTE_PGM_RSRC2:TGID_Z_EN: 0
; COMPUTE_PGM_RSRC2:TIDIG_COMP_CNT: 0
; COMPUTE_PGM_RSRC3_GFX90A:ACCUM_OFFSET: 0
; COMPUTE_PGM_RSRC3_GFX90A:TG_SPLIT: 0
	.section	.text._ZN7rocprim17ROCPRIM_400000_NS6detail17trampoline_kernelINS0_14default_configENS1_21merge_config_selectorIiNS0_10empty_typeEEEZNS1_10merge_implIS3_N6thrust23THRUST_200600_302600_NS6detail15normal_iteratorINS9_10device_ptrIKiEEEESF_NSB_INSC_IiEEEEPS5_SI_SI_NS9_4lessIiEEEE10hipError_tPvRmT0_T1_T2_T3_T4_T5_mmT6_P12ihipStream_tbEUlT_E0_NS1_11comp_targetILNS1_3genE8ELNS1_11target_archE1030ELNS1_3gpuE2ELNS1_3repE0EEENS1_30default_config_static_selectorELNS0_4arch9wavefront6targetE1EEEvSP_,"axG",@progbits,_ZN7rocprim17ROCPRIM_400000_NS6detail17trampoline_kernelINS0_14default_configENS1_21merge_config_selectorIiNS0_10empty_typeEEEZNS1_10merge_implIS3_N6thrust23THRUST_200600_302600_NS6detail15normal_iteratorINS9_10device_ptrIKiEEEESF_NSB_INSC_IiEEEEPS5_SI_SI_NS9_4lessIiEEEE10hipError_tPvRmT0_T1_T2_T3_T4_T5_mmT6_P12ihipStream_tbEUlT_E0_NS1_11comp_targetILNS1_3genE8ELNS1_11target_archE1030ELNS1_3gpuE2ELNS1_3repE0EEENS1_30default_config_static_selectorELNS0_4arch9wavefront6targetE1EEEvSP_,comdat
	.protected	_ZN7rocprim17ROCPRIM_400000_NS6detail17trampoline_kernelINS0_14default_configENS1_21merge_config_selectorIiNS0_10empty_typeEEEZNS1_10merge_implIS3_N6thrust23THRUST_200600_302600_NS6detail15normal_iteratorINS9_10device_ptrIKiEEEESF_NSB_INSC_IiEEEEPS5_SI_SI_NS9_4lessIiEEEE10hipError_tPvRmT0_T1_T2_T3_T4_T5_mmT6_P12ihipStream_tbEUlT_E0_NS1_11comp_targetILNS1_3genE8ELNS1_11target_archE1030ELNS1_3gpuE2ELNS1_3repE0EEENS1_30default_config_static_selectorELNS0_4arch9wavefront6targetE1EEEvSP_ ; -- Begin function _ZN7rocprim17ROCPRIM_400000_NS6detail17trampoline_kernelINS0_14default_configENS1_21merge_config_selectorIiNS0_10empty_typeEEEZNS1_10merge_implIS3_N6thrust23THRUST_200600_302600_NS6detail15normal_iteratorINS9_10device_ptrIKiEEEESF_NSB_INSC_IiEEEEPS5_SI_SI_NS9_4lessIiEEEE10hipError_tPvRmT0_T1_T2_T3_T4_T5_mmT6_P12ihipStream_tbEUlT_E0_NS1_11comp_targetILNS1_3genE8ELNS1_11target_archE1030ELNS1_3gpuE2ELNS1_3repE0EEENS1_30default_config_static_selectorELNS0_4arch9wavefront6targetE1EEEvSP_
	.globl	_ZN7rocprim17ROCPRIM_400000_NS6detail17trampoline_kernelINS0_14default_configENS1_21merge_config_selectorIiNS0_10empty_typeEEEZNS1_10merge_implIS3_N6thrust23THRUST_200600_302600_NS6detail15normal_iteratorINS9_10device_ptrIKiEEEESF_NSB_INSC_IiEEEEPS5_SI_SI_NS9_4lessIiEEEE10hipError_tPvRmT0_T1_T2_T3_T4_T5_mmT6_P12ihipStream_tbEUlT_E0_NS1_11comp_targetILNS1_3genE8ELNS1_11target_archE1030ELNS1_3gpuE2ELNS1_3repE0EEENS1_30default_config_static_selectorELNS0_4arch9wavefront6targetE1EEEvSP_
	.p2align	8
	.type	_ZN7rocprim17ROCPRIM_400000_NS6detail17trampoline_kernelINS0_14default_configENS1_21merge_config_selectorIiNS0_10empty_typeEEEZNS1_10merge_implIS3_N6thrust23THRUST_200600_302600_NS6detail15normal_iteratorINS9_10device_ptrIKiEEEESF_NSB_INSC_IiEEEEPS5_SI_SI_NS9_4lessIiEEEE10hipError_tPvRmT0_T1_T2_T3_T4_T5_mmT6_P12ihipStream_tbEUlT_E0_NS1_11comp_targetILNS1_3genE8ELNS1_11target_archE1030ELNS1_3gpuE2ELNS1_3repE0EEENS1_30default_config_static_selectorELNS0_4arch9wavefront6targetE1EEEvSP_,@function
_ZN7rocprim17ROCPRIM_400000_NS6detail17trampoline_kernelINS0_14default_configENS1_21merge_config_selectorIiNS0_10empty_typeEEEZNS1_10merge_implIS3_N6thrust23THRUST_200600_302600_NS6detail15normal_iteratorINS9_10device_ptrIKiEEEESF_NSB_INSC_IiEEEEPS5_SI_SI_NS9_4lessIiEEEE10hipError_tPvRmT0_T1_T2_T3_T4_T5_mmT6_P12ihipStream_tbEUlT_E0_NS1_11comp_targetILNS1_3genE8ELNS1_11target_archE1030ELNS1_3gpuE2ELNS1_3repE0EEENS1_30default_config_static_selectorELNS0_4arch9wavefront6targetE1EEEvSP_: ; @_ZN7rocprim17ROCPRIM_400000_NS6detail17trampoline_kernelINS0_14default_configENS1_21merge_config_selectorIiNS0_10empty_typeEEEZNS1_10merge_implIS3_N6thrust23THRUST_200600_302600_NS6detail15normal_iteratorINS9_10device_ptrIKiEEEESF_NSB_INSC_IiEEEEPS5_SI_SI_NS9_4lessIiEEEE10hipError_tPvRmT0_T1_T2_T3_T4_T5_mmT6_P12ihipStream_tbEUlT_E0_NS1_11comp_targetILNS1_3genE8ELNS1_11target_archE1030ELNS1_3gpuE2ELNS1_3repE0EEENS1_30default_config_static_selectorELNS0_4arch9wavefront6targetE1EEEvSP_
; %bb.0:
	.section	.rodata,"a",@progbits
	.p2align	6, 0x0
	.amdhsa_kernel _ZN7rocprim17ROCPRIM_400000_NS6detail17trampoline_kernelINS0_14default_configENS1_21merge_config_selectorIiNS0_10empty_typeEEEZNS1_10merge_implIS3_N6thrust23THRUST_200600_302600_NS6detail15normal_iteratorINS9_10device_ptrIKiEEEESF_NSB_INSC_IiEEEEPS5_SI_SI_NS9_4lessIiEEEE10hipError_tPvRmT0_T1_T2_T3_T4_T5_mmT6_P12ihipStream_tbEUlT_E0_NS1_11comp_targetILNS1_3genE8ELNS1_11target_archE1030ELNS1_3gpuE2ELNS1_3repE0EEENS1_30default_config_static_selectorELNS0_4arch9wavefront6targetE1EEEvSP_
		.amdhsa_group_segment_fixed_size 0
		.amdhsa_private_segment_fixed_size 0
		.amdhsa_kernarg_size 88
		.amdhsa_user_sgpr_count 6
		.amdhsa_user_sgpr_private_segment_buffer 1
		.amdhsa_user_sgpr_dispatch_ptr 0
		.amdhsa_user_sgpr_queue_ptr 0
		.amdhsa_user_sgpr_kernarg_segment_ptr 1
		.amdhsa_user_sgpr_dispatch_id 0
		.amdhsa_user_sgpr_flat_scratch_init 0
		.amdhsa_user_sgpr_kernarg_preload_length 0
		.amdhsa_user_sgpr_kernarg_preload_offset 0
		.amdhsa_user_sgpr_private_segment_size 0
		.amdhsa_uses_dynamic_stack 0
		.amdhsa_system_sgpr_private_segment_wavefront_offset 0
		.amdhsa_system_sgpr_workgroup_id_x 1
		.amdhsa_system_sgpr_workgroup_id_y 0
		.amdhsa_system_sgpr_workgroup_id_z 0
		.amdhsa_system_sgpr_workgroup_info 0
		.amdhsa_system_vgpr_workitem_id 0
		.amdhsa_next_free_vgpr 1
		.amdhsa_next_free_sgpr 0
		.amdhsa_accum_offset 4
		.amdhsa_reserve_vcc 0
		.amdhsa_reserve_flat_scratch 0
		.amdhsa_float_round_mode_32 0
		.amdhsa_float_round_mode_16_64 0
		.amdhsa_float_denorm_mode_32 3
		.amdhsa_float_denorm_mode_16_64 3
		.amdhsa_dx10_clamp 1
		.amdhsa_ieee_mode 1
		.amdhsa_fp16_overflow 0
		.amdhsa_tg_split 0
		.amdhsa_exception_fp_ieee_invalid_op 0
		.amdhsa_exception_fp_denorm_src 0
		.amdhsa_exception_fp_ieee_div_zero 0
		.amdhsa_exception_fp_ieee_overflow 0
		.amdhsa_exception_fp_ieee_underflow 0
		.amdhsa_exception_fp_ieee_inexact 0
		.amdhsa_exception_int_div_zero 0
	.end_amdhsa_kernel
	.section	.text._ZN7rocprim17ROCPRIM_400000_NS6detail17trampoline_kernelINS0_14default_configENS1_21merge_config_selectorIiNS0_10empty_typeEEEZNS1_10merge_implIS3_N6thrust23THRUST_200600_302600_NS6detail15normal_iteratorINS9_10device_ptrIKiEEEESF_NSB_INSC_IiEEEEPS5_SI_SI_NS9_4lessIiEEEE10hipError_tPvRmT0_T1_T2_T3_T4_T5_mmT6_P12ihipStream_tbEUlT_E0_NS1_11comp_targetILNS1_3genE8ELNS1_11target_archE1030ELNS1_3gpuE2ELNS1_3repE0EEENS1_30default_config_static_selectorELNS0_4arch9wavefront6targetE1EEEvSP_,"axG",@progbits,_ZN7rocprim17ROCPRIM_400000_NS6detail17trampoline_kernelINS0_14default_configENS1_21merge_config_selectorIiNS0_10empty_typeEEEZNS1_10merge_implIS3_N6thrust23THRUST_200600_302600_NS6detail15normal_iteratorINS9_10device_ptrIKiEEEESF_NSB_INSC_IiEEEEPS5_SI_SI_NS9_4lessIiEEEE10hipError_tPvRmT0_T1_T2_T3_T4_T5_mmT6_P12ihipStream_tbEUlT_E0_NS1_11comp_targetILNS1_3genE8ELNS1_11target_archE1030ELNS1_3gpuE2ELNS1_3repE0EEENS1_30default_config_static_selectorELNS0_4arch9wavefront6targetE1EEEvSP_,comdat
.Lfunc_end18:
	.size	_ZN7rocprim17ROCPRIM_400000_NS6detail17trampoline_kernelINS0_14default_configENS1_21merge_config_selectorIiNS0_10empty_typeEEEZNS1_10merge_implIS3_N6thrust23THRUST_200600_302600_NS6detail15normal_iteratorINS9_10device_ptrIKiEEEESF_NSB_INSC_IiEEEEPS5_SI_SI_NS9_4lessIiEEEE10hipError_tPvRmT0_T1_T2_T3_T4_T5_mmT6_P12ihipStream_tbEUlT_E0_NS1_11comp_targetILNS1_3genE8ELNS1_11target_archE1030ELNS1_3gpuE2ELNS1_3repE0EEENS1_30default_config_static_selectorELNS0_4arch9wavefront6targetE1EEEvSP_, .Lfunc_end18-_ZN7rocprim17ROCPRIM_400000_NS6detail17trampoline_kernelINS0_14default_configENS1_21merge_config_selectorIiNS0_10empty_typeEEEZNS1_10merge_implIS3_N6thrust23THRUST_200600_302600_NS6detail15normal_iteratorINS9_10device_ptrIKiEEEESF_NSB_INSC_IiEEEEPS5_SI_SI_NS9_4lessIiEEEE10hipError_tPvRmT0_T1_T2_T3_T4_T5_mmT6_P12ihipStream_tbEUlT_E0_NS1_11comp_targetILNS1_3genE8ELNS1_11target_archE1030ELNS1_3gpuE2ELNS1_3repE0EEENS1_30default_config_static_selectorELNS0_4arch9wavefront6targetE1EEEvSP_
                                        ; -- End function
	.section	.AMDGPU.csdata,"",@progbits
; Kernel info:
; codeLenInByte = 0
; NumSgprs: 4
; NumVgprs: 0
; NumAgprs: 0
; TotalNumVgprs: 0
; ScratchSize: 0
; MemoryBound: 0
; FloatMode: 240
; IeeeMode: 1
; LDSByteSize: 0 bytes/workgroup (compile time only)
; SGPRBlocks: 0
; VGPRBlocks: 0
; NumSGPRsForWavesPerEU: 4
; NumVGPRsForWavesPerEU: 1
; AccumOffset: 4
; Occupancy: 8
; WaveLimiterHint : 0
; COMPUTE_PGM_RSRC2:SCRATCH_EN: 0
; COMPUTE_PGM_RSRC2:USER_SGPR: 6
; COMPUTE_PGM_RSRC2:TRAP_HANDLER: 0
; COMPUTE_PGM_RSRC2:TGID_X_EN: 1
; COMPUTE_PGM_RSRC2:TGID_Y_EN: 0
; COMPUTE_PGM_RSRC2:TGID_Z_EN: 0
; COMPUTE_PGM_RSRC2:TIDIG_COMP_CNT: 0
; COMPUTE_PGM_RSRC3_GFX90A:ACCUM_OFFSET: 0
; COMPUTE_PGM_RSRC3_GFX90A:TG_SPLIT: 0
	.section	.text._ZN7rocprim17ROCPRIM_400000_NS6detail31init_lookback_scan_state_kernelINS1_19lookback_scan_stateIlLb0ELb1EEENS1_16ordered_block_idIjEEEEvT_jT0_jPNS7_10value_typeE,"axG",@progbits,_ZN7rocprim17ROCPRIM_400000_NS6detail31init_lookback_scan_state_kernelINS1_19lookback_scan_stateIlLb0ELb1EEENS1_16ordered_block_idIjEEEEvT_jT0_jPNS7_10value_typeE,comdat
	.protected	_ZN7rocprim17ROCPRIM_400000_NS6detail31init_lookback_scan_state_kernelINS1_19lookback_scan_stateIlLb0ELb1EEENS1_16ordered_block_idIjEEEEvT_jT0_jPNS7_10value_typeE ; -- Begin function _ZN7rocprim17ROCPRIM_400000_NS6detail31init_lookback_scan_state_kernelINS1_19lookback_scan_stateIlLb0ELb1EEENS1_16ordered_block_idIjEEEEvT_jT0_jPNS7_10value_typeE
	.globl	_ZN7rocprim17ROCPRIM_400000_NS6detail31init_lookback_scan_state_kernelINS1_19lookback_scan_stateIlLb0ELb1EEENS1_16ordered_block_idIjEEEEvT_jT0_jPNS7_10value_typeE
	.p2align	8
	.type	_ZN7rocprim17ROCPRIM_400000_NS6detail31init_lookback_scan_state_kernelINS1_19lookback_scan_stateIlLb0ELb1EEENS1_16ordered_block_idIjEEEEvT_jT0_jPNS7_10value_typeE,@function
_ZN7rocprim17ROCPRIM_400000_NS6detail31init_lookback_scan_state_kernelINS1_19lookback_scan_stateIlLb0ELb1EEENS1_16ordered_block_idIjEEEEvT_jT0_jPNS7_10value_typeE: ; @_ZN7rocprim17ROCPRIM_400000_NS6detail31init_lookback_scan_state_kernelINS1_19lookback_scan_stateIlLb0ELb1EEENS1_16ordered_block_idIjEEEEvT_jT0_jPNS7_10value_typeE
; %bb.0:
	s_load_dword s7, s[4:5], 0x34
	s_load_dwordx2 s[2:3], s[4:5], 0x20
	s_load_dwordx2 s[0:1], s[4:5], 0x0
	s_load_dword s14, s[4:5], 0x8
	s_waitcnt lgkmcnt(0)
	s_and_b32 s7, s7, 0xffff
	s_mul_i32 s6, s6, s7
	s_cmp_eq_u64 s[2:3], 0
	v_add_u32_e32 v0, s6, v0
	s_cbranch_scc1 .LBB19_8
; %bb.1:
	s_load_dword s8, s[4:5], 0x18
	s_mov_b32 s9, 0
	s_waitcnt lgkmcnt(0)
	s_cmp_lt_u32 s8, s14
	s_cselect_b32 s6, s8, 0
	v_cmp_eq_u32_e32 vcc, s6, v0
	s_and_saveexec_b64 s[6:7], vcc
	s_cbranch_execz .LBB19_7
; %bb.2:
	s_add_i32 s8, s8, 64
	s_lshl_b64 s[8:9], s[8:9], 4
	s_add_u32 s12, s0, s8
	s_addc_u32 s13, s1, s9
	v_pk_mov_b32 v[2:3], s[12:13], s[12:13] op_sel:[0,1]
	;;#ASMSTART
	global_load_dwordx4 v[2:5], v[2:3] off glc	
s_waitcnt vmcnt(0)
	;;#ASMEND
	v_mov_b32_e32 v7, 0
	v_and_b32_e32 v6, 0xff, v4
	s_mov_b64 s[10:11], 0
	v_cmp_eq_u64_e32 vcc, 0, v[6:7]
	s_and_saveexec_b64 s[8:9], vcc
	s_cbranch_execz .LBB19_6
; %bb.3:
	v_pk_mov_b32 v[8:9], s[12:13], s[12:13] op_sel:[0,1]
.LBB19_4:                               ; =>This Inner Loop Header: Depth=1
	;;#ASMSTART
	global_load_dwordx4 v[2:5], v[8:9] off glc	
s_waitcnt vmcnt(0)
	;;#ASMEND
	v_and_b32_e32 v6, 0xff, v4
	v_cmp_ne_u64_e32 vcc, 0, v[6:7]
	s_or_b64 s[10:11], vcc, s[10:11]
	s_andn2_b64 exec, exec, s[10:11]
	s_cbranch_execnz .LBB19_4
; %bb.5:
	s_or_b64 exec, exec, s[10:11]
.LBB19_6:
	s_or_b64 exec, exec, s[8:9]
	v_mov_b32_e32 v1, 0
	global_store_dwordx2 v1, v[2:3], s[2:3]
.LBB19_7:
	s_or_b64 exec, exec, s[6:7]
.LBB19_8:
	v_cmp_eq_u32_e32 vcc, 0, v0
	s_and_saveexec_b64 s[2:3], vcc
	s_cbranch_execnz .LBB19_12
; %bb.9:
	s_or_b64 exec, exec, s[2:3]
	v_cmp_gt_u32_e32 vcc, s14, v0
	s_and_saveexec_b64 s[2:3], vcc
	s_cbranch_execnz .LBB19_13
.LBB19_10:
	s_or_b64 exec, exec, s[2:3]
	v_cmp_gt_u32_e32 vcc, 64, v0
	s_and_saveexec_b64 s[2:3], vcc
	s_cbranch_execnz .LBB19_14
.LBB19_11:
	s_endpgm
.LBB19_12:
	s_load_dwordx2 s[4:5], s[4:5], 0x10
	v_mov_b32_e32 v1, 0
	s_waitcnt lgkmcnt(0)
	global_store_dword v1, v1, s[4:5]
	s_or_b64 exec, exec, s[2:3]
	v_cmp_gt_u32_e32 vcc, s14, v0
	s_and_saveexec_b64 s[2:3], vcc
	s_cbranch_execz .LBB19_10
.LBB19_13:
	v_add_u32_e32 v2, 64, v0
	v_mov_b32_e32 v3, 0
	v_lshlrev_b64 v[4:5], 4, v[2:3]
	v_mov_b32_e32 v1, s1
	v_add_co_u32_e32 v6, vcc, s0, v4
	v_addc_co_u32_e32 v7, vcc, v1, v5, vcc
	v_mov_b32_e32 v2, v3
	v_mov_b32_e32 v4, v3
	;; [unrolled: 1-line block ×3, first 2 shown]
	global_store_dwordx4 v[6:7], v[2:5], off
	s_or_b64 exec, exec, s[2:3]
	v_cmp_gt_u32_e32 vcc, 64, v0
	s_and_saveexec_b64 s[2:3], vcc
	s_cbranch_execz .LBB19_11
.LBB19_14:
	v_mov_b32_e32 v1, 0
	v_lshlrev_b64 v[2:3], 4, v[0:1]
	v_mov_b32_e32 v0, s1
	v_add_co_u32_e32 v4, vcc, s0, v2
	v_addc_co_u32_e32 v5, vcc, v0, v3, vcc
	v_mov_b32_e32 v2, 0xff
	v_mov_b32_e32 v0, v1
	;; [unrolled: 1-line block ×3, first 2 shown]
	global_store_dwordx4 v[4:5], v[0:3], off
	s_endpgm
	.section	.rodata,"a",@progbits
	.p2align	6, 0x0
	.amdhsa_kernel _ZN7rocprim17ROCPRIM_400000_NS6detail31init_lookback_scan_state_kernelINS1_19lookback_scan_stateIlLb0ELb1EEENS1_16ordered_block_idIjEEEEvT_jT0_jPNS7_10value_typeE
		.amdhsa_group_segment_fixed_size 0
		.amdhsa_private_segment_fixed_size 0
		.amdhsa_kernarg_size 296
		.amdhsa_user_sgpr_count 6
		.amdhsa_user_sgpr_private_segment_buffer 1
		.amdhsa_user_sgpr_dispatch_ptr 0
		.amdhsa_user_sgpr_queue_ptr 0
		.amdhsa_user_sgpr_kernarg_segment_ptr 1
		.amdhsa_user_sgpr_dispatch_id 0
		.amdhsa_user_sgpr_flat_scratch_init 0
		.amdhsa_user_sgpr_kernarg_preload_length 0
		.amdhsa_user_sgpr_kernarg_preload_offset 0
		.amdhsa_user_sgpr_private_segment_size 0
		.amdhsa_uses_dynamic_stack 0
		.amdhsa_system_sgpr_private_segment_wavefront_offset 0
		.amdhsa_system_sgpr_workgroup_id_x 1
		.amdhsa_system_sgpr_workgroup_id_y 0
		.amdhsa_system_sgpr_workgroup_id_z 0
		.amdhsa_system_sgpr_workgroup_info 0
		.amdhsa_system_vgpr_workitem_id 0
		.amdhsa_next_free_vgpr 10
		.amdhsa_next_free_sgpr 15
		.amdhsa_accum_offset 12
		.amdhsa_reserve_vcc 1
		.amdhsa_reserve_flat_scratch 0
		.amdhsa_float_round_mode_32 0
		.amdhsa_float_round_mode_16_64 0
		.amdhsa_float_denorm_mode_32 3
		.amdhsa_float_denorm_mode_16_64 3
		.amdhsa_dx10_clamp 1
		.amdhsa_ieee_mode 1
		.amdhsa_fp16_overflow 0
		.amdhsa_tg_split 0
		.amdhsa_exception_fp_ieee_invalid_op 0
		.amdhsa_exception_fp_denorm_src 0
		.amdhsa_exception_fp_ieee_div_zero 0
		.amdhsa_exception_fp_ieee_overflow 0
		.amdhsa_exception_fp_ieee_underflow 0
		.amdhsa_exception_fp_ieee_inexact 0
		.amdhsa_exception_int_div_zero 0
	.end_amdhsa_kernel
	.section	.text._ZN7rocprim17ROCPRIM_400000_NS6detail31init_lookback_scan_state_kernelINS1_19lookback_scan_stateIlLb0ELb1EEENS1_16ordered_block_idIjEEEEvT_jT0_jPNS7_10value_typeE,"axG",@progbits,_ZN7rocprim17ROCPRIM_400000_NS6detail31init_lookback_scan_state_kernelINS1_19lookback_scan_stateIlLb0ELb1EEENS1_16ordered_block_idIjEEEEvT_jT0_jPNS7_10value_typeE,comdat
.Lfunc_end19:
	.size	_ZN7rocprim17ROCPRIM_400000_NS6detail31init_lookback_scan_state_kernelINS1_19lookback_scan_stateIlLb0ELb1EEENS1_16ordered_block_idIjEEEEvT_jT0_jPNS7_10value_typeE, .Lfunc_end19-_ZN7rocprim17ROCPRIM_400000_NS6detail31init_lookback_scan_state_kernelINS1_19lookback_scan_stateIlLb0ELb1EEENS1_16ordered_block_idIjEEEEvT_jT0_jPNS7_10value_typeE
                                        ; -- End function
	.section	.AMDGPU.csdata,"",@progbits
; Kernel info:
; codeLenInByte = 440
; NumSgprs: 19
; NumVgprs: 10
; NumAgprs: 0
; TotalNumVgprs: 10
; ScratchSize: 0
; MemoryBound: 0
; FloatMode: 240
; IeeeMode: 1
; LDSByteSize: 0 bytes/workgroup (compile time only)
; SGPRBlocks: 2
; VGPRBlocks: 1
; NumSGPRsForWavesPerEU: 19
; NumVGPRsForWavesPerEU: 10
; AccumOffset: 12
; Occupancy: 8
; WaveLimiterHint : 0
; COMPUTE_PGM_RSRC2:SCRATCH_EN: 0
; COMPUTE_PGM_RSRC2:USER_SGPR: 6
; COMPUTE_PGM_RSRC2:TRAP_HANDLER: 0
; COMPUTE_PGM_RSRC2:TGID_X_EN: 1
; COMPUTE_PGM_RSRC2:TGID_Y_EN: 0
; COMPUTE_PGM_RSRC2:TGID_Z_EN: 0
; COMPUTE_PGM_RSRC2:TIDIG_COMP_CNT: 0
; COMPUTE_PGM_RSRC3_GFX90A:ACCUM_OFFSET: 2
; COMPUTE_PGM_RSRC3_GFX90A:TG_SPLIT: 0
	.section	.text._ZN6thrust23THRUST_200600_302600_NS11hip_rocprim14__parallel_for6kernelILj256EZNS1_16__set_operations9doit_stepILb0ENS0_6detail15normal_iteratorINS0_10device_ptrIKiEEEESB_PiSC_lNS7_INS8_IiEEEESC_NS0_4lessIiEENS4_16serial_set_unionEEE10hipError_tPvRmT0_T1_T2_T3_T4_SP_T5_T6_PSP_T7_T8_P12ihipStream_tbEUllE_jLj1EEEvSL_SM_SM_,"axG",@progbits,_ZN6thrust23THRUST_200600_302600_NS11hip_rocprim14__parallel_for6kernelILj256EZNS1_16__set_operations9doit_stepILb0ENS0_6detail15normal_iteratorINS0_10device_ptrIKiEEEESB_PiSC_lNS7_INS8_IiEEEESC_NS0_4lessIiEENS4_16serial_set_unionEEE10hipError_tPvRmT0_T1_T2_T3_T4_SP_T5_T6_PSP_T7_T8_P12ihipStream_tbEUllE_jLj1EEEvSL_SM_SM_,comdat
	.protected	_ZN6thrust23THRUST_200600_302600_NS11hip_rocprim14__parallel_for6kernelILj256EZNS1_16__set_operations9doit_stepILb0ENS0_6detail15normal_iteratorINS0_10device_ptrIKiEEEESB_PiSC_lNS7_INS8_IiEEEESC_NS0_4lessIiEENS4_16serial_set_unionEEE10hipError_tPvRmT0_T1_T2_T3_T4_SP_T5_T6_PSP_T7_T8_P12ihipStream_tbEUllE_jLj1EEEvSL_SM_SM_ ; -- Begin function _ZN6thrust23THRUST_200600_302600_NS11hip_rocprim14__parallel_for6kernelILj256EZNS1_16__set_operations9doit_stepILb0ENS0_6detail15normal_iteratorINS0_10device_ptrIKiEEEESB_PiSC_lNS7_INS8_IiEEEESC_NS0_4lessIiEENS4_16serial_set_unionEEE10hipError_tPvRmT0_T1_T2_T3_T4_SP_T5_T6_PSP_T7_T8_P12ihipStream_tbEUllE_jLj1EEEvSL_SM_SM_
	.globl	_ZN6thrust23THRUST_200600_302600_NS11hip_rocprim14__parallel_for6kernelILj256EZNS1_16__set_operations9doit_stepILb0ENS0_6detail15normal_iteratorINS0_10device_ptrIKiEEEESB_PiSC_lNS7_INS8_IiEEEESC_NS0_4lessIiEENS4_16serial_set_unionEEE10hipError_tPvRmT0_T1_T2_T3_T4_SP_T5_T6_PSP_T7_T8_P12ihipStream_tbEUllE_jLj1EEEvSL_SM_SM_
	.p2align	8
	.type	_ZN6thrust23THRUST_200600_302600_NS11hip_rocprim14__parallel_for6kernelILj256EZNS1_16__set_operations9doit_stepILb0ENS0_6detail15normal_iteratorINS0_10device_ptrIKiEEEESB_PiSC_lNS7_INS8_IiEEEESC_NS0_4lessIiEENS4_16serial_set_unionEEE10hipError_tPvRmT0_T1_T2_T3_T4_SP_T5_T6_PSP_T7_T8_P12ihipStream_tbEUllE_jLj1EEEvSL_SM_SM_,@function
_ZN6thrust23THRUST_200600_302600_NS11hip_rocprim14__parallel_for6kernelILj256EZNS1_16__set_operations9doit_stepILb0ENS0_6detail15normal_iteratorINS0_10device_ptrIKiEEEESB_PiSC_lNS7_INS8_IiEEEESC_NS0_4lessIiEENS4_16serial_set_unionEEE10hipError_tPvRmT0_T1_T2_T3_T4_SP_T5_T6_PSP_T7_T8_P12ihipStream_tbEUllE_jLj1EEEvSL_SM_SM_: ; @_ZN6thrust23THRUST_200600_302600_NS11hip_rocprim14__parallel_for6kernelILj256EZNS1_16__set_operations9doit_stepILb0ENS0_6detail15normal_iteratorINS0_10device_ptrIKiEEEESB_PiSC_lNS7_INS8_IiEEEESC_NS0_4lessIiEENS4_16serial_set_unionEEE10hipError_tPvRmT0_T1_T2_T3_T4_SP_T5_T6_PSP_T7_T8_P12ihipStream_tbEUllE_jLj1EEEvSL_SM_SM_
; %bb.0:
	s_load_dwordx2 s[0:1], s[4:5], 0x30
	s_load_dwordx2 s[2:3], s[4:5], 0x20
	s_load_dwordx8 s[8:15], s[4:5], 0x0
	s_lshl_b32 s20, s6, 8
	s_waitcnt lgkmcnt(0)
	s_add_i32 s20, s20, s1
	s_sub_i32 s0, s0, s20
	s_cmpk_lt_u32 s0, 0x100
	s_cbranch_scc0 .LBB20_12
; %bb.1:
	v_cmp_gt_u32_e32 vcc, s0, v0
	s_mov_b64 s[4:5], 0
	s_mov_b64 s[0:1], 0
                                        ; implicit-def: $vgpr4_vgpr5
                                        ; implicit-def: $vgpr6_vgpr7
	s_and_saveexec_b64 s[6:7], vcc
	s_cbranch_execz .LBB20_13
; %bb.2:
	v_add_u32_e32 v6, s20, v0
	s_movk_i32 s0, 0xfff
	v_mad_u64_u32 v[2:3], s[0:1], v6, s0, 0
	s_add_u32 s0, s10, s8
	s_addc_u32 s1, s11, s9
	v_mov_b32_e32 v1, s1
	v_cmp_lt_i64_e32 vcc, s[0:1], v[2:3]
	v_cndmask_b32_e32 v5, v3, v1, vcc
	v_mov_b32_e32 v1, s0
	v_cndmask_b32_e32 v4, v2, v1, vcc
	v_mov_b32_e32 v1, s11
	v_subrev_co_u32_e32 v2, vcc, s10, v4
	v_subb_co_u32_e32 v3, vcc, v5, v1, vcc
	v_cmp_lt_i64_e32 vcc, 0, v[2:3]
	v_cndmask_b32_e32 v3, 0, v3, vcc
	v_cndmask_b32_e32 v2, 0, v2, vcc
	v_mov_b32_e32 v1, s9
	v_cmp_lt_i64_e32 vcc, s[8:9], v[4:5]
	v_cndmask_b32_e32 v9, v5, v1, vcc
	v_mov_b32_e32 v1, s8
	v_cndmask_b32_e32 v8, v4, v1, vcc
	v_mov_b32_e32 v7, 0
	s_mov_b64 s[0:1], 0
	v_cmp_lt_i64_e32 vcc, v[2:3], v[8:9]
	s_and_saveexec_b64 s[16:17], vcc
	s_cbranch_execz .LBB20_6
; %bb.3:
	v_lshlrev_b64 v[10:11], 2, v[4:5]
	v_mov_b32_e32 v12, s3
	v_add_co_u32_e32 v1, vcc, s2, v10
	v_addc_co_u32_e32 v10, vcc, v12, v11, vcc
	v_mov_b32_e32 v11, s15
.LBB20_4:                               ; =>This Inner Loop Header: Depth=1
	v_add_co_u32_e32 v12, vcc, v8, v2
	v_addc_co_u32_e32 v13, vcc, v9, v3, vcc
	v_ashrrev_i64 v[12:13], 1, v[12:13]
	v_lshlrev_b64 v[14:15], 2, v[12:13]
	v_not_b32_e32 v17, v13
	v_not_b32_e32 v16, v12
	v_add_co_u32_e32 v14, vcc, s14, v14
	v_addc_co_u32_e32 v15, vcc, v11, v15, vcc
	v_lshlrev_b64 v[16:17], 2, v[16:17]
	global_load_dword v18, v[14:15], off
	v_add_co_u32_e32 v14, vcc, v1, v16
	v_addc_co_u32_e32 v15, vcc, v10, v17, vcc
	global_load_dword v14, v[14:15], off
	v_add_co_u32_e32 v15, vcc, 1, v12
	v_addc_co_u32_e32 v16, vcc, 0, v13, vcc
	s_waitcnt vmcnt(0)
	v_cmp_lt_i32_e32 vcc, v14, v18
	v_cndmask_b32_e32 v9, v9, v13, vcc
	v_cndmask_b32_e32 v8, v8, v12, vcc
	;; [unrolled: 1-line block ×4, first 2 shown]
	v_cmp_ge_i64_e32 vcc, v[2:3], v[8:9]
	s_or_b64 s[0:1], vcc, s[0:1]
	s_andn2_b64 exec, exec, s[0:1]
	s_cbranch_execnz .LBB20_4
; %bb.5:
	s_or_b64 exec, exec, s[0:1]
.LBB20_6:
	s_or_b64 exec, exec, s[16:17]
	v_sub_co_u32_e32 v12, vcc, v4, v2
	v_subb_co_u32_e32 v13, vcc, v5, v3, vcc
	v_cmp_gt_i64_e32 vcc, s[10:11], v[12:13]
	v_pk_mov_b32 v[10:11], 0, 0
	s_and_saveexec_b64 s[16:17], vcc
	s_cbranch_execz .LBB20_38
; %bb.7:
	v_lshlrev_b64 v[8:9], 2, v[12:13]
	v_mov_b32_e32 v1, s3
	v_add_co_u32_e32 v10, vcc, s2, v8
	v_addc_co_u32_e32 v11, vcc, v1, v9, vcc
	global_load_dword v1, v[10:11], off
	v_cmp_lt_i64_e32 vcc, 0, v[2:3]
	v_pk_mov_b32 v[8:9], 0, 0
	v_pk_mov_b32 v[14:15], v[2:3], v[2:3] op_sel:[0,1]
	s_and_saveexec_b64 s[0:1], vcc
	s_cbranch_execnz .LBB20_14
; %bb.8:
	s_or_b64 exec, exec, s[0:1]
	v_cmp_lt_i64_e32 vcc, v[8:9], v[14:15]
	s_and_saveexec_b64 s[0:1], vcc
	s_cbranch_execnz .LBB20_15
.LBB20_9:
	s_or_b64 exec, exec, s[0:1]
	v_cmp_lt_i64_e32 vcc, v[8:9], v[14:15]
	s_and_saveexec_b64 s[0:1], vcc
	s_cbranch_execnz .LBB20_16
.LBB20_10:
	s_or_b64 exec, exec, s[0:1]
	v_cmp_lt_i64_e32 vcc, v[8:9], v[14:15]
	s_and_saveexec_b64 s[0:1], vcc
	s_cbranch_execnz .LBB20_17
.LBB20_11:
	s_or_b64 exec, exec, s[0:1]
	v_cmp_lt_i64_e32 vcc, v[8:9], v[14:15]
	s_and_saveexec_b64 s[0:1], vcc
	s_cbranch_execnz .LBB20_18
	s_branch .LBB20_21
.LBB20_12:
	s_mov_b64 s[0:1], 0
                                        ; implicit-def: $vgpr4_vgpr5
                                        ; implicit-def: $vgpr6_vgpr7
	s_cbranch_execnz .LBB20_39
	s_branch .LBB20_74
.LBB20_13:
	s_or_b64 exec, exec, s[6:7]
	s_and_b64 vcc, exec, s[4:5]
	s_cbranch_vccnz .LBB20_39
	s_branch .LBB20_74
.LBB20_14:
	s_movk_i32 s21, 0x1ff
	v_mad_u64_u32 v[8:9], s[18:19], v2, s21, 0
	v_mov_b32_e32 v14, v9
	v_mad_u64_u32 v[14:15], s[18:19], v3, s21, v[14:15]
	v_mov_b32_e32 v9, v14
	v_lshrrev_b64 v[14:15], 9, v[8:9]
	v_lshlrev_b64 v[8:9], 2, v[14:15]
	v_mov_b32_e32 v16, s15
	v_add_co_u32_e32 v8, vcc, s14, v8
	v_addc_co_u32_e32 v9, vcc, v16, v9, vcc
	global_load_dword v8, v[8:9], off
	v_add_co_u32_e32 v16, vcc, 1, v14
	v_addc_co_u32_e32 v9, vcc, 0, v15, vcc
	s_waitcnt vmcnt(0)
	v_cmp_lt_i32_e32 vcc, v8, v1
	v_cndmask_b32_e32 v9, 0, v9, vcc
	v_cndmask_b32_e32 v8, 0, v16, vcc
	;; [unrolled: 1-line block ×4, first 2 shown]
	s_or_b64 exec, exec, s[0:1]
	v_cmp_lt_i64_e32 vcc, v[8:9], v[14:15]
	s_and_saveexec_b64 s[0:1], vcc
	s_cbranch_execz .LBB20_9
.LBB20_15:
	s_movk_i32 s21, 0x7f
	v_mad_u64_u32 v[16:17], s[18:19], v14, s21, v[8:9]
	v_mov_b32_e32 v18, v17
	v_mad_u64_u32 v[18:19], s[18:19], v15, s21, v[18:19]
	v_mov_b32_e32 v17, v18
	v_lshrrev_b64 v[16:17], 7, v[16:17]
	v_lshlrev_b64 v[18:19], 2, v[16:17]
	v_mov_b32_e32 v20, s15
	v_add_co_u32_e32 v18, vcc, s14, v18
	v_addc_co_u32_e32 v19, vcc, v20, v19, vcc
	global_load_dword v18, v[18:19], off
	v_add_co_u32_e32 v19, vcc, 1, v16
	v_addc_co_u32_e32 v20, vcc, 0, v17, vcc
	s_waitcnt vmcnt(0)
	v_cmp_lt_i32_e32 vcc, v18, v1
	v_cndmask_b32_e32 v9, v9, v20, vcc
	v_cndmask_b32_e32 v8, v8, v19, vcc
	;; [unrolled: 1-line block ×4, first 2 shown]
	s_or_b64 exec, exec, s[0:1]
	v_cmp_lt_i64_e32 vcc, v[8:9], v[14:15]
	s_and_saveexec_b64 s[0:1], vcc
	s_cbranch_execz .LBB20_10
.LBB20_16:
	v_mad_u64_u32 v[16:17], s[18:19], v14, 31, v[8:9]
	v_mov_b32_e32 v18, v17
	v_mad_u64_u32 v[18:19], s[18:19], v15, 31, v[18:19]
	v_mov_b32_e32 v17, v18
	v_lshrrev_b64 v[16:17], 5, v[16:17]
	v_lshlrev_b64 v[18:19], 2, v[16:17]
	v_mov_b32_e32 v20, s15
	v_add_co_u32_e32 v18, vcc, s14, v18
	v_addc_co_u32_e32 v19, vcc, v20, v19, vcc
	global_load_dword v18, v[18:19], off
	v_add_co_u32_e32 v19, vcc, 1, v16
	v_addc_co_u32_e32 v20, vcc, 0, v17, vcc
	s_waitcnt vmcnt(0)
	v_cmp_lt_i32_e32 vcc, v18, v1
	v_cndmask_b32_e32 v9, v9, v20, vcc
	v_cndmask_b32_e32 v8, v8, v19, vcc
	;; [unrolled: 1-line block ×4, first 2 shown]
	s_or_b64 exec, exec, s[0:1]
	v_cmp_lt_i64_e32 vcc, v[8:9], v[14:15]
	s_and_saveexec_b64 s[0:1], vcc
	s_cbranch_execz .LBB20_11
.LBB20_17:
	v_mad_u64_u32 v[16:17], s[18:19], v14, 15, v[8:9]
	v_mov_b32_e32 v18, v17
	v_mad_u64_u32 v[18:19], s[18:19], v15, 15, v[18:19]
	v_mov_b32_e32 v17, v18
	v_lshrrev_b64 v[16:17], 4, v[16:17]
	v_lshlrev_b64 v[18:19], 2, v[16:17]
	v_mov_b32_e32 v20, s15
	v_add_co_u32_e32 v18, vcc, s14, v18
	v_addc_co_u32_e32 v19, vcc, v20, v19, vcc
	global_load_dword v18, v[18:19], off
	v_add_co_u32_e32 v19, vcc, 1, v16
	v_addc_co_u32_e32 v20, vcc, 0, v17, vcc
	s_waitcnt vmcnt(0)
	v_cmp_lt_i32_e32 vcc, v18, v1
	v_cndmask_b32_e32 v9, v9, v20, vcc
	v_cndmask_b32_e32 v8, v8, v19, vcc
	;; [unrolled: 1-line block ×4, first 2 shown]
	s_or_b64 exec, exec, s[0:1]
	v_cmp_lt_i64_e32 vcc, v[8:9], v[14:15]
	s_and_saveexec_b64 s[0:1], vcc
	s_cbranch_execz .LBB20_21
.LBB20_18:
	s_mov_b64 s[18:19], 0
	v_mov_b32_e32 v16, s15
.LBB20_19:                              ; =>This Inner Loop Header: Depth=1
	v_add_co_u32_e32 v18, vcc, v8, v14
	v_addc_co_u32_e32 v19, vcc, v9, v15, vcc
	v_ashrrev_i64 v[18:19], 1, v[18:19]
	v_lshlrev_b64 v[20:21], 2, v[18:19]
	v_add_co_u32_e32 v20, vcc, s14, v20
	v_addc_co_u32_e32 v21, vcc, v16, v21, vcc
	global_load_dword v17, v[20:21], off
	v_add_co_u32_e32 v20, vcc, 1, v18
	v_addc_co_u32_e32 v21, vcc, 0, v19, vcc
	s_waitcnt vmcnt(0)
	v_cmp_lt_i32_e32 vcc, v17, v1
	v_cndmask_b32_e32 v9, v9, v21, vcc
	v_cndmask_b32_e32 v8, v8, v20, vcc
	;; [unrolled: 1-line block ×4, first 2 shown]
	v_cmp_ge_i64_e32 vcc, v[8:9], v[14:15]
	s_or_b64 s[18:19], vcc, s[18:19]
	s_andn2_b64 exec, exec, s[18:19]
	s_cbranch_execnz .LBB20_19
; %bb.20:
	s_or_b64 exec, exec, s[18:19]
.LBB20_21:
	s_or_b64 exec, exec, s[0:1]
	v_cmp_lt_i64_e32 vcc, 0, v[12:13]
	v_pk_mov_b32 v[14:15], 0, 0
	v_pk_mov_b32 v[16:17], v[12:13], v[12:13] op_sel:[0,1]
	s_and_saveexec_b64 s[0:1], vcc
	s_cbranch_execnz .LBB20_26
; %bb.22:
	s_or_b64 exec, exec, s[0:1]
	v_cmp_lt_i64_e32 vcc, v[14:15], v[16:17]
	s_and_saveexec_b64 s[0:1], vcc
	s_cbranch_execnz .LBB20_27
.LBB20_23:
	s_or_b64 exec, exec, s[0:1]
	v_cmp_lt_i64_e32 vcc, v[14:15], v[16:17]
	s_and_saveexec_b64 s[0:1], vcc
	s_cbranch_execnz .LBB20_28
.LBB20_24:
	s_or_b64 exec, exec, s[0:1]
	v_cmp_lt_i64_e32 vcc, v[14:15], v[16:17]
	s_and_saveexec_b64 s[0:1], vcc
	s_cbranch_execnz .LBB20_29
.LBB20_25:
	s_or_b64 exec, exec, s[0:1]
	v_cmp_lt_i64_e32 vcc, v[14:15], v[16:17]
	s_and_saveexec_b64 s[0:1], vcc
	s_cbranch_execnz .LBB20_30
	s_branch .LBB20_33
.LBB20_26:
	s_movk_i32 s21, 0x1ff
	v_mad_u64_u32 v[14:15], s[18:19], v12, s21, 0
	v_mov_b32_e32 v16, v15
	v_mad_u64_u32 v[16:17], s[18:19], v13, s21, v[16:17]
	v_mov_b32_e32 v15, v16
	v_lshrrev_b64 v[16:17], 9, v[14:15]
	v_lshlrev_b64 v[14:15], 2, v[16:17]
	v_mov_b32_e32 v18, s3
	v_add_co_u32_e32 v14, vcc, s2, v14
	v_addc_co_u32_e32 v15, vcc, v18, v15, vcc
	global_load_dword v14, v[14:15], off
	v_add_co_u32_e32 v18, vcc, 1, v16
	v_addc_co_u32_e32 v15, vcc, 0, v17, vcc
	s_waitcnt vmcnt(0)
	v_cmp_lt_i32_e32 vcc, v14, v1
	v_cndmask_b32_e32 v15, 0, v15, vcc
	v_cndmask_b32_e32 v14, 0, v18, vcc
	;; [unrolled: 1-line block ×4, first 2 shown]
	s_or_b64 exec, exec, s[0:1]
	v_cmp_lt_i64_e32 vcc, v[14:15], v[16:17]
	s_and_saveexec_b64 s[0:1], vcc
	s_cbranch_execz .LBB20_23
.LBB20_27:
	s_movk_i32 s21, 0x7f
	v_mad_u64_u32 v[18:19], s[18:19], v16, s21, v[14:15]
	v_mov_b32_e32 v20, v19
	v_mad_u64_u32 v[20:21], s[18:19], v17, s21, v[20:21]
	v_mov_b32_e32 v19, v20
	v_lshrrev_b64 v[18:19], 7, v[18:19]
	v_lshlrev_b64 v[20:21], 2, v[18:19]
	v_mov_b32_e32 v22, s3
	v_add_co_u32_e32 v20, vcc, s2, v20
	v_addc_co_u32_e32 v21, vcc, v22, v21, vcc
	global_load_dword v20, v[20:21], off
	v_add_co_u32_e32 v21, vcc, 1, v18
	v_addc_co_u32_e32 v22, vcc, 0, v19, vcc
	s_waitcnt vmcnt(0)
	v_cmp_lt_i32_e32 vcc, v20, v1
	v_cndmask_b32_e32 v15, v15, v22, vcc
	v_cndmask_b32_e32 v14, v14, v21, vcc
	;; [unrolled: 1-line block ×4, first 2 shown]
	s_or_b64 exec, exec, s[0:1]
	v_cmp_lt_i64_e32 vcc, v[14:15], v[16:17]
	s_and_saveexec_b64 s[0:1], vcc
	s_cbranch_execz .LBB20_24
.LBB20_28:
	v_mad_u64_u32 v[18:19], s[18:19], v16, 31, v[14:15]
	v_mov_b32_e32 v20, v19
	v_mad_u64_u32 v[20:21], s[18:19], v17, 31, v[20:21]
	v_mov_b32_e32 v19, v20
	v_lshrrev_b64 v[18:19], 5, v[18:19]
	v_lshlrev_b64 v[20:21], 2, v[18:19]
	v_mov_b32_e32 v22, s3
	v_add_co_u32_e32 v20, vcc, s2, v20
	v_addc_co_u32_e32 v21, vcc, v22, v21, vcc
	global_load_dword v20, v[20:21], off
	v_add_co_u32_e32 v21, vcc, 1, v18
	v_addc_co_u32_e32 v22, vcc, 0, v19, vcc
	s_waitcnt vmcnt(0)
	v_cmp_lt_i32_e32 vcc, v20, v1
	v_cndmask_b32_e32 v15, v15, v22, vcc
	v_cndmask_b32_e32 v14, v14, v21, vcc
	v_cndmask_b32_e32 v17, v19, v17, vcc
	v_cndmask_b32_e32 v16, v18, v16, vcc
	s_or_b64 exec, exec, s[0:1]
	v_cmp_lt_i64_e32 vcc, v[14:15], v[16:17]
	s_and_saveexec_b64 s[0:1], vcc
	s_cbranch_execz .LBB20_25
.LBB20_29:
	v_mad_u64_u32 v[18:19], s[18:19], v16, 15, v[14:15]
	v_mov_b32_e32 v20, v19
	v_mad_u64_u32 v[20:21], s[18:19], v17, 15, v[20:21]
	v_mov_b32_e32 v19, v20
	v_lshrrev_b64 v[18:19], 4, v[18:19]
	v_lshlrev_b64 v[20:21], 2, v[18:19]
	v_mov_b32_e32 v22, s3
	v_add_co_u32_e32 v20, vcc, s2, v20
	v_addc_co_u32_e32 v21, vcc, v22, v21, vcc
	global_load_dword v20, v[20:21], off
	v_add_co_u32_e32 v21, vcc, 1, v18
	v_addc_co_u32_e32 v22, vcc, 0, v19, vcc
	s_waitcnt vmcnt(0)
	v_cmp_lt_i32_e32 vcc, v20, v1
	v_cndmask_b32_e32 v15, v15, v22, vcc
	v_cndmask_b32_e32 v14, v14, v21, vcc
	;; [unrolled: 1-line block ×4, first 2 shown]
	s_or_b64 exec, exec, s[0:1]
	v_cmp_lt_i64_e32 vcc, v[14:15], v[16:17]
	s_and_saveexec_b64 s[0:1], vcc
	s_cbranch_execz .LBB20_33
.LBB20_30:
	s_mov_b64 s[18:19], 0
	v_mov_b32_e32 v18, s3
.LBB20_31:                              ; =>This Inner Loop Header: Depth=1
	v_add_co_u32_e32 v20, vcc, v14, v16
	v_addc_co_u32_e32 v21, vcc, v15, v17, vcc
	v_ashrrev_i64 v[20:21], 1, v[20:21]
	v_lshlrev_b64 v[22:23], 2, v[20:21]
	v_add_co_u32_e32 v22, vcc, s2, v22
	v_addc_co_u32_e32 v23, vcc, v18, v23, vcc
	global_load_dword v19, v[22:23], off
	v_add_co_u32_e32 v22, vcc, 1, v20
	v_addc_co_u32_e32 v23, vcc, 0, v21, vcc
	s_waitcnt vmcnt(0)
	v_cmp_lt_i32_e32 vcc, v19, v1
	v_cndmask_b32_e32 v15, v15, v23, vcc
	v_cndmask_b32_e32 v14, v14, v22, vcc
	;; [unrolled: 1-line block ×4, first 2 shown]
	v_cmp_ge_i64_e32 vcc, v[14:15], v[16:17]
	s_or_b64 s[18:19], vcc, s[18:19]
	s_andn2_b64 exec, exec, s[18:19]
	s_cbranch_execnz .LBB20_31
; %bb.32:
	s_or_b64 exec, exec, s[18:19]
.LBB20_33:
	s_or_b64 exec, exec, s[0:1]
	v_sub_co_u32_e32 v2, vcc, v2, v8
	v_subb_co_u32_e32 v3, vcc, v3, v9, vcc
	v_sub_co_u32_e32 v18, vcc, v12, v14
	v_subb_co_u32_e32 v19, vcc, v13, v15, vcc
	v_add_co_u32_e32 v16, vcc, v18, v2
	v_addc_co_u32_e32 v17, vcc, v19, v3, vcc
	v_ashrrev_i64 v[2:3], 1, v[16:17]
	v_cmp_gt_i64_e32 vcc, v[2:3], v[18:19]
	v_cndmask_b32_e32 v2, v18, v2, vcc
	v_cndmask_b32_e32 v3, v19, v3, vcc
	v_add_co_u32_e32 v14, vcc, v14, v2
	v_addc_co_u32_e32 v15, vcc, v15, v3, vcc
	v_add_co_u32_e32 v14, vcc, 1, v14
	v_addc_co_u32_e32 v15, vcc, 0, v15, vcc
	v_mov_b32_e32 v20, s11
	v_cmp_gt_i64_e32 vcc, s[10:11], v[14:15]
	v_cndmask_b32_e32 v15, v20, v15, vcc
	v_mov_b32_e32 v20, s10
	v_cndmask_b32_e32 v14, v20, v14, vcc
	v_sub_co_u32_e32 v14, vcc, v14, v12
	v_subb_co_u32_e32 v15, vcc, v15, v13, vcc
	s_mov_b64 s[18:19], 0
	v_cmp_lt_i64_e32 vcc, 0, v[14:15]
	v_pk_mov_b32 v[12:13], 0, 0
	s_and_saveexec_b64 s[0:1], vcc
	s_cbranch_execz .LBB20_37
; %bb.34:
	v_pk_mov_b32 v[12:13], 0, 0
.LBB20_35:                              ; =>This Inner Loop Header: Depth=1
	v_add_co_u32_e32 v20, vcc, v12, v14
	v_addc_co_u32_e32 v21, vcc, v13, v15, vcc
	v_ashrrev_i64 v[20:21], 1, v[20:21]
	v_lshlrev_b64 v[22:23], 2, v[20:21]
	v_add_co_u32_e32 v22, vcc, v10, v22
	v_addc_co_u32_e32 v23, vcc, v11, v23, vcc
	global_load_dword v22, v[22:23], off
	v_add_co_u32_e32 v23, vcc, 1, v20
	v_addc_co_u32_e32 v24, vcc, 0, v21, vcc
	s_waitcnt vmcnt(0)
	v_cmp_gt_i32_e32 vcc, v22, v1
	v_cndmask_b32_e32 v13, v24, v13, vcc
	v_cndmask_b32_e32 v12, v23, v12, vcc
	;; [unrolled: 1-line block ×4, first 2 shown]
	v_cmp_ge_i64_e32 vcc, v[12:13], v[14:15]
	s_or_b64 s[18:19], vcc, s[18:19]
	s_andn2_b64 exec, exec, s[18:19]
	s_cbranch_execnz .LBB20_35
; %bb.36:
	s_or_b64 exec, exec, s[18:19]
	v_ashrrev_i32_e32 v13, 31, v12
.LBB20_37:
	s_or_b64 exec, exec, s[0:1]
	v_add_co_u32_e32 v10, vcc, v12, v18
	v_addc_co_u32_e32 v11, vcc, v13, v19, vcc
	v_cmp_lt_i64_e32 vcc, v[10:11], v[2:3]
	v_cndmask_b32_e32 v14, v2, v10, vcc
	s_waitcnt vmcnt(0)
	v_cndmask_b32_e32 v1, v3, v11, vcc
	v_sub_co_u32_e32 v12, vcc, v16, v14
	v_subb_co_u32_e32 v13, vcc, v17, v1, vcc
	v_add_co_u32_e32 v14, vcc, 1, v14
	v_addc_co_u32_e32 v15, vcc, 0, v1, vcc
	v_cmp_eq_u64_e32 vcc, v[12:13], v[14:15]
	v_cmp_lt_i64_e64 s[0:1], v[2:3], v[10:11]
	s_and_b64 s[0:1], vcc, s[0:1]
	v_cndmask_b32_e64 v10, 0, 1, s[0:1]
	s_mov_b32 s0, 0
	v_add_co_u32_e32 v2, vcc, v12, v8
	v_mov_b32_e32 v11, s0
	v_addc_co_u32_e32 v3, vcc, v13, v9, vcc
.LBB20_38:
	s_or_b64 exec, exec, s[16:17]
	v_add_co_u32_e32 v1, vcc, v10, v4
	v_addc_co_u32_e32 v5, vcc, v11, v5, vcc
	v_sub_co_u32_e32 v4, vcc, v1, v2
	s_mov_b64 s[0:1], exec
	v_subb_co_u32_e32 v5, vcc, v5, v3, vcc
	s_or_b64 exec, exec, s[6:7]
	s_and_b64 vcc, exec, s[4:5]
	s_cbranch_vccz .LBB20_74
.LBB20_39:
	v_add_u32_e32 v6, s20, v0
	s_movk_i32 s0, 0xfff
	v_mad_u64_u32 v[0:1], s[0:1], v6, s0, 0
	s_add_u32 s0, s10, s8
	s_addc_u32 s1, s11, s9
	v_mov_b32_e32 v2, s1
	v_cmp_lt_i64_e32 vcc, s[0:1], v[0:1]
	v_cndmask_b32_e32 v1, v1, v2, vcc
	v_mov_b32_e32 v2, s0
	v_cndmask_b32_e32 v0, v0, v2, vcc
	v_mov_b32_e32 v3, s11
	v_subrev_co_u32_e32 v2, vcc, s10, v0
	v_subb_co_u32_e32 v3, vcc, v1, v3, vcc
	v_cmp_lt_i64_e32 vcc, 0, v[2:3]
	v_cndmask_b32_e32 v3, 0, v3, vcc
	v_cndmask_b32_e32 v2, 0, v2, vcc
	v_mov_b32_e32 v4, s9
	v_cmp_lt_i64_e32 vcc, s[8:9], v[0:1]
	v_cndmask_b32_e32 v5, v1, v4, vcc
	v_mov_b32_e32 v4, s8
	v_cndmask_b32_e32 v4, v0, v4, vcc
	v_mov_b32_e32 v7, 0
	s_mov_b64 s[0:1], 0
	v_cmp_lt_i64_e32 vcc, v[2:3], v[4:5]
	s_and_saveexec_b64 s[4:5], vcc
	s_cbranch_execz .LBB20_43
; %bb.40:
	v_lshlrev_b64 v[8:9], 2, v[0:1]
	v_mov_b32_e32 v10, s3
	v_add_co_u32_e32 v8, vcc, s2, v8
	v_addc_co_u32_e32 v9, vcc, v10, v9, vcc
	v_mov_b32_e32 v10, s15
.LBB20_41:                              ; =>This Inner Loop Header: Depth=1
	v_add_co_u32_e32 v12, vcc, v4, v2
	v_addc_co_u32_e32 v13, vcc, v5, v3, vcc
	v_ashrrev_i64 v[12:13], 1, v[12:13]
	v_lshlrev_b64 v[14:15], 2, v[12:13]
	v_not_b32_e32 v17, v13
	v_not_b32_e32 v16, v12
	v_add_co_u32_e32 v14, vcc, s14, v14
	v_addc_co_u32_e32 v15, vcc, v10, v15, vcc
	v_lshlrev_b64 v[16:17], 2, v[16:17]
	global_load_dword v11, v[14:15], off
	v_add_co_u32_e32 v14, vcc, v8, v16
	v_addc_co_u32_e32 v15, vcc, v9, v17, vcc
	global_load_dword v14, v[14:15], off
	v_add_co_u32_e32 v15, vcc, 1, v12
	v_addc_co_u32_e32 v16, vcc, 0, v13, vcc
	s_waitcnt vmcnt(0)
	v_cmp_lt_i32_e32 vcc, v14, v11
	v_cndmask_b32_e32 v5, v5, v13, vcc
	v_cndmask_b32_e32 v4, v4, v12, vcc
	;; [unrolled: 1-line block ×4, first 2 shown]
	v_cmp_ge_i64_e32 vcc, v[2:3], v[4:5]
	s_or_b64 s[0:1], vcc, s[0:1]
	s_andn2_b64 exec, exec, s[0:1]
	s_cbranch_execnz .LBB20_41
; %bb.42:
	s_or_b64 exec, exec, s[0:1]
.LBB20_43:
	s_or_b64 exec, exec, s[4:5]
	v_sub_co_u32_e32 v10, vcc, v0, v2
	v_subb_co_u32_e32 v11, vcc, v1, v3, vcc
	v_cmp_gt_i64_e32 vcc, s[10:11], v[10:11]
	v_pk_mov_b32 v[8:9], 0, 0
	s_and_saveexec_b64 s[4:5], vcc
	s_cbranch_execz .LBB20_73
; %bb.44:
	v_lshlrev_b64 v[4:5], 2, v[10:11]
	v_mov_b32_e32 v9, s3
	v_add_co_u32_e32 v8, vcc, s2, v4
	v_addc_co_u32_e32 v9, vcc, v9, v5, vcc
	global_load_dword v18, v[8:9], off
	v_cmp_lt_i64_e32 vcc, 0, v[2:3]
	v_pk_mov_b32 v[4:5], 0, 0
	v_pk_mov_b32 v[12:13], v[2:3], v[2:3] op_sel:[0,1]
	s_and_saveexec_b64 s[0:1], vcc
	s_cbranch_execnz .LBB20_49
; %bb.45:
	s_or_b64 exec, exec, s[0:1]
	v_cmp_lt_i64_e32 vcc, v[4:5], v[12:13]
	s_and_saveexec_b64 s[0:1], vcc
	s_cbranch_execnz .LBB20_50
.LBB20_46:
	s_or_b64 exec, exec, s[0:1]
	v_cmp_lt_i64_e32 vcc, v[4:5], v[12:13]
	s_and_saveexec_b64 s[0:1], vcc
	s_cbranch_execnz .LBB20_51
.LBB20_47:
	s_or_b64 exec, exec, s[0:1]
	v_cmp_lt_i64_e32 vcc, v[4:5], v[12:13]
	s_and_saveexec_b64 s[0:1], vcc
	s_cbranch_execnz .LBB20_52
.LBB20_48:
	s_or_b64 exec, exec, s[0:1]
	v_cmp_lt_i64_e32 vcc, v[4:5], v[12:13]
	s_and_saveexec_b64 s[0:1], vcc
	s_cbranch_execnz .LBB20_53
	s_branch .LBB20_56
.LBB20_49:
	s_movk_i32 s8, 0x1ff
	v_mad_u64_u32 v[4:5], s[6:7], v2, s8, 0
	v_mov_b32_e32 v12, v5
	v_mad_u64_u32 v[12:13], s[6:7], v3, s8, v[12:13]
	v_mov_b32_e32 v5, v12
	v_lshrrev_b64 v[12:13], 9, v[4:5]
	v_lshlrev_b64 v[4:5], 2, v[12:13]
	v_mov_b32_e32 v14, s15
	v_add_co_u32_e32 v4, vcc, s14, v4
	v_addc_co_u32_e32 v5, vcc, v14, v5, vcc
	global_load_dword v4, v[4:5], off
	v_add_co_u32_e32 v14, vcc, 1, v12
	v_addc_co_u32_e32 v5, vcc, 0, v13, vcc
	s_waitcnt vmcnt(0)
	v_cmp_lt_i32_e32 vcc, v4, v18
	v_cndmask_b32_e32 v5, 0, v5, vcc
	v_cndmask_b32_e32 v4, 0, v14, vcc
	;; [unrolled: 1-line block ×4, first 2 shown]
	s_or_b64 exec, exec, s[0:1]
	v_cmp_lt_i64_e32 vcc, v[4:5], v[12:13]
	s_and_saveexec_b64 s[0:1], vcc
	s_cbranch_execz .LBB20_46
.LBB20_50:
	s_movk_i32 s8, 0x7f
	v_mad_u64_u32 v[14:15], s[6:7], v12, s8, v[4:5]
	v_mov_b32_e32 v16, v15
	v_mad_u64_u32 v[16:17], s[6:7], v13, s8, v[16:17]
	v_mov_b32_e32 v15, v16
	v_lshrrev_b64 v[14:15], 7, v[14:15]
	v_lshlrev_b64 v[16:17], 2, v[14:15]
	v_mov_b32_e32 v19, s15
	v_add_co_u32_e32 v16, vcc, s14, v16
	v_addc_co_u32_e32 v17, vcc, v19, v17, vcc
	global_load_dword v16, v[16:17], off
	v_add_co_u32_e32 v17, vcc, 1, v14
	v_addc_co_u32_e32 v19, vcc, 0, v15, vcc
	s_waitcnt vmcnt(0)
	v_cmp_lt_i32_e32 vcc, v16, v18
	v_cndmask_b32_e32 v5, v5, v19, vcc
	v_cndmask_b32_e32 v4, v4, v17, vcc
	;; [unrolled: 1-line block ×4, first 2 shown]
	s_or_b64 exec, exec, s[0:1]
	v_cmp_lt_i64_e32 vcc, v[4:5], v[12:13]
	s_and_saveexec_b64 s[0:1], vcc
	s_cbranch_execz .LBB20_47
.LBB20_51:
	v_mad_u64_u32 v[14:15], s[6:7], v12, 31, v[4:5]
	v_mov_b32_e32 v16, v15
	v_mad_u64_u32 v[16:17], s[6:7], v13, 31, v[16:17]
	v_mov_b32_e32 v15, v16
	v_lshrrev_b64 v[14:15], 5, v[14:15]
	v_lshlrev_b64 v[16:17], 2, v[14:15]
	v_mov_b32_e32 v19, s15
	v_add_co_u32_e32 v16, vcc, s14, v16
	v_addc_co_u32_e32 v17, vcc, v19, v17, vcc
	global_load_dword v16, v[16:17], off
	v_add_co_u32_e32 v17, vcc, 1, v14
	v_addc_co_u32_e32 v19, vcc, 0, v15, vcc
	s_waitcnt vmcnt(0)
	v_cmp_lt_i32_e32 vcc, v16, v18
	v_cndmask_b32_e32 v5, v5, v19, vcc
	v_cndmask_b32_e32 v4, v4, v17, vcc
	;; [unrolled: 1-line block ×4, first 2 shown]
	s_or_b64 exec, exec, s[0:1]
	v_cmp_lt_i64_e32 vcc, v[4:5], v[12:13]
	s_and_saveexec_b64 s[0:1], vcc
	s_cbranch_execz .LBB20_48
.LBB20_52:
	v_mad_u64_u32 v[14:15], s[6:7], v12, 15, v[4:5]
	v_mov_b32_e32 v16, v15
	v_mad_u64_u32 v[16:17], s[6:7], v13, 15, v[16:17]
	v_mov_b32_e32 v15, v16
	v_lshrrev_b64 v[14:15], 4, v[14:15]
	v_lshlrev_b64 v[16:17], 2, v[14:15]
	v_mov_b32_e32 v19, s15
	v_add_co_u32_e32 v16, vcc, s14, v16
	v_addc_co_u32_e32 v17, vcc, v19, v17, vcc
	global_load_dword v16, v[16:17], off
	v_add_co_u32_e32 v17, vcc, 1, v14
	v_addc_co_u32_e32 v19, vcc, 0, v15, vcc
	s_waitcnt vmcnt(0)
	v_cmp_lt_i32_e32 vcc, v16, v18
	v_cndmask_b32_e32 v5, v5, v19, vcc
	v_cndmask_b32_e32 v4, v4, v17, vcc
	;; [unrolled: 1-line block ×4, first 2 shown]
	s_or_b64 exec, exec, s[0:1]
	v_cmp_lt_i64_e32 vcc, v[4:5], v[12:13]
	s_and_saveexec_b64 s[0:1], vcc
	s_cbranch_execz .LBB20_56
.LBB20_53:
	s_mov_b64 s[6:7], 0
	v_mov_b32_e32 v14, s15
.LBB20_54:                              ; =>This Inner Loop Header: Depth=1
	v_add_co_u32_e32 v16, vcc, v4, v12
	v_addc_co_u32_e32 v17, vcc, v5, v13, vcc
	v_ashrrev_i64 v[16:17], 1, v[16:17]
	v_lshlrev_b64 v[20:21], 2, v[16:17]
	v_add_co_u32_e32 v20, vcc, s14, v20
	v_addc_co_u32_e32 v21, vcc, v14, v21, vcc
	global_load_dword v15, v[20:21], off
	v_add_co_u32_e32 v19, vcc, 1, v16
	v_addc_co_u32_e32 v20, vcc, 0, v17, vcc
	s_waitcnt vmcnt(0)
	v_cmp_lt_i32_e32 vcc, v15, v18
	v_cndmask_b32_e32 v5, v5, v20, vcc
	v_cndmask_b32_e32 v4, v4, v19, vcc
	;; [unrolled: 1-line block ×4, first 2 shown]
	v_cmp_ge_i64_e32 vcc, v[4:5], v[12:13]
	s_or_b64 s[6:7], vcc, s[6:7]
	s_andn2_b64 exec, exec, s[6:7]
	s_cbranch_execnz .LBB20_54
; %bb.55:
	s_or_b64 exec, exec, s[6:7]
.LBB20_56:
	s_or_b64 exec, exec, s[0:1]
	v_cmp_lt_i64_e32 vcc, 0, v[10:11]
	v_pk_mov_b32 v[12:13], 0, 0
	v_pk_mov_b32 v[14:15], v[10:11], v[10:11] op_sel:[0,1]
	s_and_saveexec_b64 s[0:1], vcc
	s_cbranch_execnz .LBB20_61
; %bb.57:
	s_or_b64 exec, exec, s[0:1]
	v_cmp_lt_i64_e32 vcc, v[12:13], v[14:15]
	s_and_saveexec_b64 s[0:1], vcc
	s_cbranch_execnz .LBB20_62
.LBB20_58:
	s_or_b64 exec, exec, s[0:1]
	v_cmp_lt_i64_e32 vcc, v[12:13], v[14:15]
	s_and_saveexec_b64 s[0:1], vcc
	s_cbranch_execnz .LBB20_63
.LBB20_59:
	s_or_b64 exec, exec, s[0:1]
	v_cmp_lt_i64_e32 vcc, v[12:13], v[14:15]
	s_and_saveexec_b64 s[0:1], vcc
	s_cbranch_execnz .LBB20_64
.LBB20_60:
	s_or_b64 exec, exec, s[0:1]
	v_cmp_lt_i64_e32 vcc, v[12:13], v[14:15]
	s_and_saveexec_b64 s[0:1], vcc
	s_cbranch_execnz .LBB20_65
	s_branch .LBB20_68
.LBB20_61:
	s_movk_i32 s8, 0x1ff
	v_mad_u64_u32 v[12:13], s[6:7], v10, s8, 0
	v_mov_b32_e32 v14, v13
	v_mad_u64_u32 v[14:15], s[6:7], v11, s8, v[14:15]
	v_mov_b32_e32 v13, v14
	v_lshrrev_b64 v[14:15], 9, v[12:13]
	v_lshlrev_b64 v[12:13], 2, v[14:15]
	v_mov_b32_e32 v16, s3
	v_add_co_u32_e32 v12, vcc, s2, v12
	v_addc_co_u32_e32 v13, vcc, v16, v13, vcc
	global_load_dword v12, v[12:13], off
	v_add_co_u32_e32 v16, vcc, 1, v14
	v_addc_co_u32_e32 v13, vcc, 0, v15, vcc
	s_waitcnt vmcnt(0)
	v_cmp_lt_i32_e32 vcc, v12, v18
	v_cndmask_b32_e32 v13, 0, v13, vcc
	v_cndmask_b32_e32 v12, 0, v16, vcc
	;; [unrolled: 1-line block ×4, first 2 shown]
	s_or_b64 exec, exec, s[0:1]
	v_cmp_lt_i64_e32 vcc, v[12:13], v[14:15]
	s_and_saveexec_b64 s[0:1], vcc
	s_cbranch_execz .LBB20_58
.LBB20_62:
	s_movk_i32 s8, 0x7f
	v_mad_u64_u32 v[16:17], s[6:7], v14, s8, v[12:13]
	v_mov_b32_e32 v20, v17
	v_mad_u64_u32 v[20:21], s[6:7], v15, s8, v[20:21]
	v_mov_b32_e32 v17, v20
	v_lshrrev_b64 v[16:17], 7, v[16:17]
	v_lshlrev_b64 v[20:21], 2, v[16:17]
	v_mov_b32_e32 v19, s3
	v_add_co_u32_e32 v20, vcc, s2, v20
	v_addc_co_u32_e32 v21, vcc, v19, v21, vcc
	global_load_dword v19, v[20:21], off
	v_add_co_u32_e32 v20, vcc, 1, v16
	v_addc_co_u32_e32 v21, vcc, 0, v17, vcc
	s_waitcnt vmcnt(0)
	v_cmp_lt_i32_e32 vcc, v19, v18
	v_cndmask_b32_e32 v13, v13, v21, vcc
	v_cndmask_b32_e32 v12, v12, v20, vcc
	;; [unrolled: 1-line block ×4, first 2 shown]
	s_or_b64 exec, exec, s[0:1]
	v_cmp_lt_i64_e32 vcc, v[12:13], v[14:15]
	s_and_saveexec_b64 s[0:1], vcc
	s_cbranch_execz .LBB20_59
.LBB20_63:
	v_mad_u64_u32 v[16:17], s[6:7], v14, 31, v[12:13]
	v_mov_b32_e32 v20, v17
	v_mad_u64_u32 v[20:21], s[6:7], v15, 31, v[20:21]
	v_mov_b32_e32 v17, v20
	v_lshrrev_b64 v[16:17], 5, v[16:17]
	v_lshlrev_b64 v[20:21], 2, v[16:17]
	v_mov_b32_e32 v19, s3
	v_add_co_u32_e32 v20, vcc, s2, v20
	v_addc_co_u32_e32 v21, vcc, v19, v21, vcc
	global_load_dword v19, v[20:21], off
	v_add_co_u32_e32 v20, vcc, 1, v16
	v_addc_co_u32_e32 v21, vcc, 0, v17, vcc
	s_waitcnt vmcnt(0)
	v_cmp_lt_i32_e32 vcc, v19, v18
	v_cndmask_b32_e32 v13, v13, v21, vcc
	v_cndmask_b32_e32 v12, v12, v20, vcc
	v_cndmask_b32_e32 v15, v17, v15, vcc
	v_cndmask_b32_e32 v14, v16, v14, vcc
	s_or_b64 exec, exec, s[0:1]
	v_cmp_lt_i64_e32 vcc, v[12:13], v[14:15]
	s_and_saveexec_b64 s[0:1], vcc
	s_cbranch_execz .LBB20_60
.LBB20_64:
	v_mad_u64_u32 v[16:17], s[6:7], v14, 15, v[12:13]
	v_mov_b32_e32 v20, v17
	v_mad_u64_u32 v[20:21], s[6:7], v15, 15, v[20:21]
	v_mov_b32_e32 v17, v20
	v_lshrrev_b64 v[16:17], 4, v[16:17]
	v_lshlrev_b64 v[20:21], 2, v[16:17]
	v_mov_b32_e32 v19, s3
	v_add_co_u32_e32 v20, vcc, s2, v20
	v_addc_co_u32_e32 v21, vcc, v19, v21, vcc
	global_load_dword v19, v[20:21], off
	v_add_co_u32_e32 v20, vcc, 1, v16
	v_addc_co_u32_e32 v21, vcc, 0, v17, vcc
	s_waitcnt vmcnt(0)
	v_cmp_lt_i32_e32 vcc, v19, v18
	v_cndmask_b32_e32 v13, v13, v21, vcc
	v_cndmask_b32_e32 v12, v12, v20, vcc
	v_cndmask_b32_e32 v15, v17, v15, vcc
	v_cndmask_b32_e32 v14, v16, v14, vcc
	s_or_b64 exec, exec, s[0:1]
	v_cmp_lt_i64_e32 vcc, v[12:13], v[14:15]
	s_and_saveexec_b64 s[0:1], vcc
	s_cbranch_execz .LBB20_68
.LBB20_65:
	s_mov_b64 s[6:7], 0
	v_mov_b32_e32 v16, s3
.LBB20_66:                              ; =>This Inner Loop Header: Depth=1
	v_add_co_u32_e32 v20, vcc, v12, v14
	v_addc_co_u32_e32 v21, vcc, v13, v15, vcc
	v_ashrrev_i64 v[20:21], 1, v[20:21]
	v_lshlrev_b64 v[22:23], 2, v[20:21]
	v_add_co_u32_e32 v22, vcc, s2, v22
	v_addc_co_u32_e32 v23, vcc, v16, v23, vcc
	global_load_dword v17, v[22:23], off
	v_add_co_u32_e32 v19, vcc, 1, v20
	v_addc_co_u32_e32 v22, vcc, 0, v21, vcc
	s_waitcnt vmcnt(0)
	v_cmp_lt_i32_e32 vcc, v17, v18
	v_cndmask_b32_e32 v13, v13, v22, vcc
	v_cndmask_b32_e32 v12, v12, v19, vcc
	;; [unrolled: 1-line block ×4, first 2 shown]
	v_cmp_ge_i64_e32 vcc, v[12:13], v[14:15]
	s_or_b64 s[6:7], vcc, s[6:7]
	s_andn2_b64 exec, exec, s[6:7]
	s_cbranch_execnz .LBB20_66
; %bb.67:
	s_or_b64 exec, exec, s[6:7]
.LBB20_68:
	s_or_b64 exec, exec, s[0:1]
	v_sub_co_u32_e32 v2, vcc, v2, v4
	v_subb_co_u32_e32 v3, vcc, v3, v5, vcc
	v_sub_co_u32_e32 v16, vcc, v10, v12
	v_subb_co_u32_e32 v17, vcc, v11, v13, vcc
	v_add_co_u32_e32 v14, vcc, v16, v2
	v_addc_co_u32_e32 v15, vcc, v17, v3, vcc
	v_ashrrev_i64 v[2:3], 1, v[14:15]
	v_cmp_gt_i64_e32 vcc, v[2:3], v[16:17]
	v_cndmask_b32_e32 v2, v16, v2, vcc
	v_cndmask_b32_e32 v3, v17, v3, vcc
	v_add_co_u32_e32 v12, vcc, v12, v2
	v_addc_co_u32_e32 v13, vcc, v13, v3, vcc
	v_add_co_u32_e32 v12, vcc, 1, v12
	v_addc_co_u32_e32 v13, vcc, 0, v13, vcc
	v_mov_b32_e32 v19, s11
	v_cmp_gt_i64_e32 vcc, s[10:11], v[12:13]
	v_cndmask_b32_e32 v13, v19, v13, vcc
	v_mov_b32_e32 v19, s10
	v_cndmask_b32_e32 v12, v19, v12, vcc
	v_sub_co_u32_e32 v12, vcc, v12, v10
	v_subb_co_u32_e32 v13, vcc, v13, v11, vcc
	s_mov_b64 s[2:3], 0
	v_cmp_lt_i64_e32 vcc, 0, v[12:13]
	v_pk_mov_b32 v[10:11], 0, 0
	s_and_saveexec_b64 s[0:1], vcc
	s_cbranch_execz .LBB20_72
; %bb.69:
	v_pk_mov_b32 v[10:11], 0, 0
.LBB20_70:                              ; =>This Inner Loop Header: Depth=1
	v_add_co_u32_e32 v20, vcc, v10, v12
	v_addc_co_u32_e32 v21, vcc, v11, v13, vcc
	v_ashrrev_i64 v[20:21], 1, v[20:21]
	v_lshlrev_b64 v[22:23], 2, v[20:21]
	v_add_co_u32_e32 v22, vcc, v8, v22
	v_addc_co_u32_e32 v23, vcc, v9, v23, vcc
	global_load_dword v19, v[22:23], off
	v_add_co_u32_e32 v22, vcc, 1, v20
	v_addc_co_u32_e32 v23, vcc, 0, v21, vcc
	s_waitcnt vmcnt(0)
	v_cmp_gt_i32_e32 vcc, v19, v18
	v_cndmask_b32_e32 v11, v23, v11, vcc
	v_cndmask_b32_e32 v10, v22, v10, vcc
	;; [unrolled: 1-line block ×4, first 2 shown]
	v_cmp_ge_i64_e32 vcc, v[10:11], v[12:13]
	s_or_b64 s[2:3], vcc, s[2:3]
	s_andn2_b64 exec, exec, s[2:3]
	s_cbranch_execnz .LBB20_70
; %bb.71:
	s_or_b64 exec, exec, s[2:3]
	v_ashrrev_i32_e32 v11, 31, v10
.LBB20_72:
	s_or_b64 exec, exec, s[0:1]
	v_add_co_u32_e32 v8, vcc, v10, v16
	v_addc_co_u32_e32 v9, vcc, v11, v17, vcc
	v_cmp_lt_i64_e32 vcc, v[8:9], v[2:3]
	v_cndmask_b32_e32 v12, v2, v8, vcc
	v_cndmask_b32_e32 v13, v3, v9, vcc
	v_sub_co_u32_e32 v10, vcc, v14, v12
	v_subb_co_u32_e32 v11, vcc, v15, v13, vcc
	v_add_co_u32_e32 v12, vcc, 1, v12
	v_addc_co_u32_e32 v13, vcc, 0, v13, vcc
	v_cmp_eq_u64_e32 vcc, v[10:11], v[12:13]
	v_cmp_lt_i64_e64 s[0:1], v[2:3], v[8:9]
	s_and_b64 s[0:1], vcc, s[0:1]
	v_cndmask_b32_e64 v8, 0, 1, s[0:1]
	s_mov_b32 s0, 0
	v_add_co_u32_e32 v2, vcc, v10, v4
	v_mov_b32_e32 v9, s0
	v_addc_co_u32_e32 v3, vcc, v11, v5, vcc
.LBB20_73:
	s_or_b64 exec, exec, s[4:5]
	v_add_co_u32_e32 v0, vcc, v8, v0
	v_addc_co_u32_e32 v1, vcc, v9, v1, vcc
	v_sub_co_u32_e32 v4, vcc, v0, v2
	v_subb_co_u32_e32 v5, vcc, v1, v3, vcc
	s_mov_b64 s[0:1], -1
.LBB20_74:
	s_and_saveexec_b64 s[2:3], s[0:1]
	s_cbranch_execnz .LBB20_76
; %bb.75:
	s_endpgm
.LBB20_76:
	v_lshlrev_b64 v[0:1], 4, v[6:7]
	v_mov_b32_e32 v6, s13
	v_add_co_u32_e32 v0, vcc, s12, v0
	v_addc_co_u32_e32 v1, vcc, v6, v1, vcc
	global_store_dwordx4 v[0:1], v[2:5], off
	s_endpgm
	.section	.rodata,"a",@progbits
	.p2align	6, 0x0
	.amdhsa_kernel _ZN6thrust23THRUST_200600_302600_NS11hip_rocprim14__parallel_for6kernelILj256EZNS1_16__set_operations9doit_stepILb0ENS0_6detail15normal_iteratorINS0_10device_ptrIKiEEEESB_PiSC_lNS7_INS8_IiEEEESC_NS0_4lessIiEENS4_16serial_set_unionEEE10hipError_tPvRmT0_T1_T2_T3_T4_SP_T5_T6_PSP_T7_T8_P12ihipStream_tbEUllE_jLj1EEEvSL_SM_SM_
		.amdhsa_group_segment_fixed_size 0
		.amdhsa_private_segment_fixed_size 0
		.amdhsa_kernarg_size 56
		.amdhsa_user_sgpr_count 6
		.amdhsa_user_sgpr_private_segment_buffer 1
		.amdhsa_user_sgpr_dispatch_ptr 0
		.amdhsa_user_sgpr_queue_ptr 0
		.amdhsa_user_sgpr_kernarg_segment_ptr 1
		.amdhsa_user_sgpr_dispatch_id 0
		.amdhsa_user_sgpr_flat_scratch_init 0
		.amdhsa_user_sgpr_kernarg_preload_length 0
		.amdhsa_user_sgpr_kernarg_preload_offset 0
		.amdhsa_user_sgpr_private_segment_size 0
		.amdhsa_uses_dynamic_stack 0
		.amdhsa_system_sgpr_private_segment_wavefront_offset 0
		.amdhsa_system_sgpr_workgroup_id_x 1
		.amdhsa_system_sgpr_workgroup_id_y 0
		.amdhsa_system_sgpr_workgroup_id_z 0
		.amdhsa_system_sgpr_workgroup_info 0
		.amdhsa_system_vgpr_workitem_id 0
		.amdhsa_next_free_vgpr 25
		.amdhsa_next_free_sgpr 22
		.amdhsa_accum_offset 28
		.amdhsa_reserve_vcc 1
		.amdhsa_reserve_flat_scratch 0
		.amdhsa_float_round_mode_32 0
		.amdhsa_float_round_mode_16_64 0
		.amdhsa_float_denorm_mode_32 3
		.amdhsa_float_denorm_mode_16_64 3
		.amdhsa_dx10_clamp 1
		.amdhsa_ieee_mode 1
		.amdhsa_fp16_overflow 0
		.amdhsa_tg_split 0
		.amdhsa_exception_fp_ieee_invalid_op 0
		.amdhsa_exception_fp_denorm_src 0
		.amdhsa_exception_fp_ieee_div_zero 0
		.amdhsa_exception_fp_ieee_overflow 0
		.amdhsa_exception_fp_ieee_underflow 0
		.amdhsa_exception_fp_ieee_inexact 0
		.amdhsa_exception_int_div_zero 0
	.end_amdhsa_kernel
	.section	.text._ZN6thrust23THRUST_200600_302600_NS11hip_rocprim14__parallel_for6kernelILj256EZNS1_16__set_operations9doit_stepILb0ENS0_6detail15normal_iteratorINS0_10device_ptrIKiEEEESB_PiSC_lNS7_INS8_IiEEEESC_NS0_4lessIiEENS4_16serial_set_unionEEE10hipError_tPvRmT0_T1_T2_T3_T4_SP_T5_T6_PSP_T7_T8_P12ihipStream_tbEUllE_jLj1EEEvSL_SM_SM_,"axG",@progbits,_ZN6thrust23THRUST_200600_302600_NS11hip_rocprim14__parallel_for6kernelILj256EZNS1_16__set_operations9doit_stepILb0ENS0_6detail15normal_iteratorINS0_10device_ptrIKiEEEESB_PiSC_lNS7_INS8_IiEEEESC_NS0_4lessIiEENS4_16serial_set_unionEEE10hipError_tPvRmT0_T1_T2_T3_T4_SP_T5_T6_PSP_T7_T8_P12ihipStream_tbEUllE_jLj1EEEvSL_SM_SM_,comdat
.Lfunc_end20:
	.size	_ZN6thrust23THRUST_200600_302600_NS11hip_rocprim14__parallel_for6kernelILj256EZNS1_16__set_operations9doit_stepILb0ENS0_6detail15normal_iteratorINS0_10device_ptrIKiEEEESB_PiSC_lNS7_INS8_IiEEEESC_NS0_4lessIiEENS4_16serial_set_unionEEE10hipError_tPvRmT0_T1_T2_T3_T4_SP_T5_T6_PSP_T7_T8_P12ihipStream_tbEUllE_jLj1EEEvSL_SM_SM_, .Lfunc_end20-_ZN6thrust23THRUST_200600_302600_NS11hip_rocprim14__parallel_for6kernelILj256EZNS1_16__set_operations9doit_stepILb0ENS0_6detail15normal_iteratorINS0_10device_ptrIKiEEEESB_PiSC_lNS7_INS8_IiEEEESC_NS0_4lessIiEENS4_16serial_set_unionEEE10hipError_tPvRmT0_T1_T2_T3_T4_SP_T5_T6_PSP_T7_T8_P12ihipStream_tbEUllE_jLj1EEEvSL_SM_SM_
                                        ; -- End function
	.section	.AMDGPU.csdata,"",@progbits
; Kernel info:
; codeLenInByte = 3988
; NumSgprs: 26
; NumVgprs: 25
; NumAgprs: 0
; TotalNumVgprs: 25
; ScratchSize: 0
; MemoryBound: 0
; FloatMode: 240
; IeeeMode: 1
; LDSByteSize: 0 bytes/workgroup (compile time only)
; SGPRBlocks: 3
; VGPRBlocks: 3
; NumSGPRsForWavesPerEU: 26
; NumVGPRsForWavesPerEU: 25
; AccumOffset: 28
; Occupancy: 8
; WaveLimiterHint : 0
; COMPUTE_PGM_RSRC2:SCRATCH_EN: 0
; COMPUTE_PGM_RSRC2:USER_SGPR: 6
; COMPUTE_PGM_RSRC2:TRAP_HANDLER: 0
; COMPUTE_PGM_RSRC2:TGID_X_EN: 1
; COMPUTE_PGM_RSRC2:TGID_Y_EN: 0
; COMPUTE_PGM_RSRC2:TGID_Z_EN: 0
; COMPUTE_PGM_RSRC2:TIDIG_COMP_CNT: 0
; COMPUTE_PGM_RSRC3_GFX90A:ACCUM_OFFSET: 6
; COMPUTE_PGM_RSRC3_GFX90A:TG_SPLIT: 0
	.section	.text._ZN6thrust23THRUST_200600_302600_NS11hip_rocprim16__set_operations22lookback_set_op_kernelIN7rocprim17ROCPRIM_400000_NS13kernel_configILj256ELj16ELj4294967295EEELb0ENS0_6detail15normal_iteratorINS0_10device_ptrIKiEEEESD_PiSE_lNS9_INSA_IiEEEESE_NS0_4lessIiEENS2_16serial_set_unionENS5_6detail19lookback_scan_stateIlLb0ELb1EEEEEvT1_T2_T3_T4_T6_T7_T8_T9_PNS0_4pairIT5_SW_EEPSW_T10_NSK_16ordered_block_idIjEE,"axG",@progbits,_ZN6thrust23THRUST_200600_302600_NS11hip_rocprim16__set_operations22lookback_set_op_kernelIN7rocprim17ROCPRIM_400000_NS13kernel_configILj256ELj16ELj4294967295EEELb0ENS0_6detail15normal_iteratorINS0_10device_ptrIKiEEEESD_PiSE_lNS9_INSA_IiEEEESE_NS0_4lessIiEENS2_16serial_set_unionENS5_6detail19lookback_scan_stateIlLb0ELb1EEEEEvT1_T2_T3_T4_T6_T7_T8_T9_PNS0_4pairIT5_SW_EEPSW_T10_NSK_16ordered_block_idIjEE,comdat
	.protected	_ZN6thrust23THRUST_200600_302600_NS11hip_rocprim16__set_operations22lookback_set_op_kernelIN7rocprim17ROCPRIM_400000_NS13kernel_configILj256ELj16ELj4294967295EEELb0ENS0_6detail15normal_iteratorINS0_10device_ptrIKiEEEESD_PiSE_lNS9_INSA_IiEEEESE_NS0_4lessIiEENS2_16serial_set_unionENS5_6detail19lookback_scan_stateIlLb0ELb1EEEEEvT1_T2_T3_T4_T6_T7_T8_T9_PNS0_4pairIT5_SW_EEPSW_T10_NSK_16ordered_block_idIjEE ; -- Begin function _ZN6thrust23THRUST_200600_302600_NS11hip_rocprim16__set_operations22lookback_set_op_kernelIN7rocprim17ROCPRIM_400000_NS13kernel_configILj256ELj16ELj4294967295EEELb0ENS0_6detail15normal_iteratorINS0_10device_ptrIKiEEEESD_PiSE_lNS9_INSA_IiEEEESE_NS0_4lessIiEENS2_16serial_set_unionENS5_6detail19lookback_scan_stateIlLb0ELb1EEEEEvT1_T2_T3_T4_T6_T7_T8_T9_PNS0_4pairIT5_SW_EEPSW_T10_NSK_16ordered_block_idIjEE
	.globl	_ZN6thrust23THRUST_200600_302600_NS11hip_rocprim16__set_operations22lookback_set_op_kernelIN7rocprim17ROCPRIM_400000_NS13kernel_configILj256ELj16ELj4294967295EEELb0ENS0_6detail15normal_iteratorINS0_10device_ptrIKiEEEESD_PiSE_lNS9_INSA_IiEEEESE_NS0_4lessIiEENS2_16serial_set_unionENS5_6detail19lookback_scan_stateIlLb0ELb1EEEEEvT1_T2_T3_T4_T6_T7_T8_T9_PNS0_4pairIT5_SW_EEPSW_T10_NSK_16ordered_block_idIjEE
	.p2align	8
	.type	_ZN6thrust23THRUST_200600_302600_NS11hip_rocprim16__set_operations22lookback_set_op_kernelIN7rocprim17ROCPRIM_400000_NS13kernel_configILj256ELj16ELj4294967295EEELb0ENS0_6detail15normal_iteratorINS0_10device_ptrIKiEEEESD_PiSE_lNS9_INSA_IiEEEESE_NS0_4lessIiEENS2_16serial_set_unionENS5_6detail19lookback_scan_stateIlLb0ELb1EEEEEvT1_T2_T3_T4_T6_T7_T8_T9_PNS0_4pairIT5_SW_EEPSW_T10_NSK_16ordered_block_idIjEE,@function
_ZN6thrust23THRUST_200600_302600_NS11hip_rocprim16__set_operations22lookback_set_op_kernelIN7rocprim17ROCPRIM_400000_NS13kernel_configILj256ELj16ELj4294967295EEELb0ENS0_6detail15normal_iteratorINS0_10device_ptrIKiEEEESD_PiSE_lNS9_INSA_IiEEEESE_NS0_4lessIiEENS2_16serial_set_unionENS5_6detail19lookback_scan_stateIlLb0ELb1EEEEEvT1_T2_T3_T4_T6_T7_T8_T9_PNS0_4pairIT5_SW_EEPSW_T10_NSK_16ordered_block_idIjEE: ; @_ZN6thrust23THRUST_200600_302600_NS11hip_rocprim16__set_operations22lookback_set_op_kernelIN7rocprim17ROCPRIM_400000_NS13kernel_configILj256ELj16ELj4294967295EEELb0ENS0_6detail15normal_iteratorINS0_10device_ptrIKiEEEESD_PiSE_lNS9_INSA_IiEEEESE_NS0_4lessIiEENS2_16serial_set_unionENS5_6detail19lookback_scan_stateIlLb0ELb1EEEEEvT1_T2_T3_T4_T6_T7_T8_T9_PNS0_4pairIT5_SW_EEPSW_T10_NSK_16ordered_block_idIjEE
; %bb.0:
	s_load_dword s0, s[4:5], 0x64
	s_load_dword s8, s[4:5], 0x58
	s_load_dwordx8 s[52:59], s[4:5], 0x38
	v_bfe_u32 v1, v0, 10, 10
	v_bfe_u32 v2, v0, 20, 10
	s_waitcnt lgkmcnt(0)
	s_lshr_b32 s1, s0, 16
	s_and_b32 s0, s0, 0xffff
	v_mad_u32_u24 v1, v2, s1, v1
	v_and_b32_e32 v16, 0x3ff, v0
	v_mul_lo_u32 v1, v1, s0
	v_sub_u32_e32 v0, 0, v16
	v_cmp_eq_u32_e32 vcc, v1, v0
	s_and_saveexec_b64 s[0:1], vcc
	s_cbranch_execz .LBB21_4
; %bb.1:
	s_mov_b64 s[6:7], exec
	v_mbcnt_lo_u32_b32 v0, s6, 0
	v_mbcnt_hi_u32_b32 v0, s7, v0
	v_cmp_eq_u32_e32 vcc, 0, v0
                                        ; implicit-def: $vgpr1
	s_and_saveexec_b64 s[2:3], vcc
	s_cbranch_execz .LBB21_3
; %bb.2:
	s_bcnt1_i32_b64 s6, s[6:7]
	v_mov_b32_e32 v1, 0
	v_mov_b32_e32 v2, s6
	global_atomic_add v1, v1, v2, s[58:59] glc
.LBB21_3:
	s_or_b64 exec, exec, s[2:3]
	s_waitcnt vmcnt(0)
	v_readfirstlane_b32 s2, v1
	v_add_u32_e32 v0, s2, v0
	v_mov_b32_e32 v1, 0
	ds_write_b32 v1, v0 offset:36864
.LBB21_4:
	s_or_b64 exec, exec, s[0:1]
	v_mov_b32_e32 v8, 0
	s_waitcnt lgkmcnt(0)
	s_barrier
	ds_read_b32 v9, v8 offset:36864
	s_add_i32 s8, s8, -1
	s_waitcnt lgkmcnt(0)
	v_readfirstlane_b32 s58, v9
	s_ashr_i32 s59, s58, 31
	s_lshl_b64 s[0:1], s[58:59], 4
	s_add_u32 s0, s52, s0
	s_addc_u32 s1, s53, s1
	global_load_dwordx4 v[0:3], v8, s[0:1] offset:16
	global_load_dwordx4 v[4:7], v8, s[0:1]
	s_load_dwordx4 s[0:3], s[4:5], 0x0
	s_load_dwordx2 s[52:53], s[4:5], 0x20
	v_cmp_le_i32_e32 vcc, s8, v9
	s_and_b64 vcc, exec, vcc
	s_waitcnt lgkmcnt(0)
	v_mov_b32_e32 v8, s1
	v_mov_b32_e32 v10, s3
	s_waitcnt vmcnt(0)
	v_sub_u32_e32 v20, v0, v4
	v_lshlrev_b64 v[0:1], 2, v[4:5]
	v_add_co_u32_e64 v24, s[0:1], s0, v0
	v_sub_u32_e32 v21, v2, v6
	v_lshlrev_b64 v[2:3], 2, v[6:7]
	v_addc_co_u32_e64 v25, s[0:1], v8, v1, s[0:1]
	v_add_co_u32_e64 v22, s[0:1], s2, v2
	v_addc_co_u32_e64 v23, s[0:1], v10, v3, s[0:1]
	s_mov_b64 s[0:1], -1
	s_cbranch_vccz .LBB21_208
; %bb.5:
	v_add_u32_e32 v17, v21, v20
	v_cmp_lt_i32_e32 vcc, v16, v17
                                        ; implicit-def: $vgpr0_vgpr1_vgpr2_vgpr3_vgpr4_vgpr5_vgpr6_vgpr7_vgpr8_vgpr9_vgpr10_vgpr11_vgpr12_vgpr13_vgpr14_vgpr15
	s_and_saveexec_b64 s[0:1], vcc
	s_cbranch_execz .LBB21_7
; %bb.6:
	v_lshlrev_b32_e32 v0, 2, v16
	v_add_co_u32_e32 v2, vcc, v24, v0
	v_sub_u32_e32 v0, v16, v20
	v_ashrrev_i32_e32 v1, 31, v0
	v_addc_co_u32_e32 v3, vcc, 0, v25, vcc
	v_lshlrev_b64 v[0:1], 2, v[0:1]
	v_add_co_u32_e32 v0, vcc, v22, v0
	v_addc_co_u32_e32 v1, vcc, v23, v1, vcc
	v_cmp_lt_i32_e32 vcc, v16, v20
	v_cndmask_b32_e32 v1, v1, v3, vcc
	v_cndmask_b32_e32 v0, v0, v2, vcc
	global_load_dword v0, v[0:1], off
.LBB21_7:
	s_or_b64 exec, exec, s[0:1]
	v_add_u32_e32 v18, 0x100, v16
	v_cmp_lt_i32_e32 vcc, v18, v17
	s_and_saveexec_b64 s[0:1], vcc
	s_cbranch_execz .LBB21_9
; %bb.8:
	v_lshlrev_b32_e32 v1, 2, v16
	v_add_co_u32_e32 v1, vcc, v24, v1
	v_addc_co_u32_e32 v19, vcc, 0, v25, vcc
	v_ashrrev_i32_e32 v27, 31, v20
	v_sub_co_u32_e32 v26, vcc, v16, v20
	v_subb_co_u32_e32 v27, vcc, 0, v27, vcc
	v_lshlrev_b64 v[26:27], 2, v[26:27]
	v_add_co_u32_e32 v26, vcc, v22, v26
	v_addc_co_u32_e32 v27, vcc, v23, v27, vcc
	v_cmp_lt_i32_e32 vcc, v18, v20
	v_cndmask_b32_e32 v19, v27, v19, vcc
	v_cndmask_b32_e32 v18, v26, v1, vcc
	global_load_dword v1, v[18:19], off offset:1024
.LBB21_9:
	s_or_b64 exec, exec, s[0:1]
	v_add_u32_e32 v18, 0x200, v16
	v_cmp_lt_i32_e32 vcc, v18, v17
	s_and_saveexec_b64 s[0:1], vcc
	s_cbranch_execz .LBB21_11
; %bb.10:
	v_lshlrev_b32_e32 v2, 2, v16
	v_add_co_u32_e32 v2, vcc, v24, v2
	v_addc_co_u32_e32 v19, vcc, 0, v25, vcc
	v_ashrrev_i32_e32 v27, 31, v20
	v_sub_co_u32_e32 v26, vcc, v16, v20
	v_subb_co_u32_e32 v27, vcc, 0, v27, vcc
	v_lshlrev_b64 v[26:27], 2, v[26:27]
	v_add_co_u32_e32 v26, vcc, v22, v26
	v_addc_co_u32_e32 v27, vcc, v23, v27, vcc
	v_cmp_lt_i32_e32 vcc, v18, v20
	v_cndmask_b32_e32 v19, v27, v19, vcc
	v_cndmask_b32_e32 v18, v26, v2, vcc
	global_load_dword v2, v[18:19], off offset:2048
.LBB21_11:
	;; [unrolled: 20-line block ×3, first 2 shown]
	s_or_b64 exec, exec, s[0:1]
	v_or_b32_e32 v18, 0x400, v16
	v_cmp_lt_i32_e32 vcc, v18, v17
	s_and_saveexec_b64 s[0:1], vcc
	s_cbranch_execz .LBB21_15
; %bb.14:
	v_lshlrev_b32_e32 v4, 2, v18
	v_sub_u32_e32 v26, v18, v20
	v_add_co_u32_e32 v4, vcc, v24, v4
	v_ashrrev_i32_e32 v27, 31, v26
	v_addc_co_u32_e32 v19, vcc, 0, v25, vcc
	v_lshlrev_b64 v[26:27], 2, v[26:27]
	v_add_co_u32_e32 v26, vcc, v22, v26
	v_addc_co_u32_e32 v27, vcc, v23, v27, vcc
	v_cmp_lt_i32_e32 vcc, v18, v20
	v_cndmask_b32_e32 v19, v27, v19, vcc
	v_cndmask_b32_e32 v18, v26, v4, vcc
	global_load_dword v4, v[18:19], off
.LBB21_15:
	s_or_b64 exec, exec, s[0:1]
	v_add_u32_e32 v18, 0x500, v16
	v_cmp_lt_i32_e32 vcc, v18, v17
	s_and_saveexec_b64 s[0:1], vcc
	s_cbranch_execz .LBB21_17
; %bb.16:
	v_lshlrev_b32_e32 v5, 2, v18
	v_sub_u32_e32 v26, v18, v20
	v_add_co_u32_e32 v5, vcc, v24, v5
	v_ashrrev_i32_e32 v27, 31, v26
	v_addc_co_u32_e32 v19, vcc, 0, v25, vcc
	v_lshlrev_b64 v[26:27], 2, v[26:27]
	v_add_co_u32_e32 v26, vcc, v22, v26
	v_addc_co_u32_e32 v27, vcc, v23, v27, vcc
	v_cmp_lt_i32_e32 vcc, v18, v20
	v_cndmask_b32_e32 v19, v27, v19, vcc
	v_cndmask_b32_e32 v18, v26, v5, vcc
	global_load_dword v5, v[18:19], off
.LBB21_17:
	s_or_b64 exec, exec, s[0:1]
	v_add_u32_e32 v18, 0x600, v16
	;; [unrolled: 19-line block ×3, first 2 shown]
	v_cmp_lt_i32_e32 vcc, v18, v17
	s_and_saveexec_b64 s[0:1], vcc
	s_cbranch_execz .LBB21_21
; %bb.20:
	v_lshlrev_b32_e32 v7, 2, v18
	v_sub_u32_e32 v26, v18, v20
	v_add_co_u32_e32 v7, vcc, v24, v7
	v_ashrrev_i32_e32 v27, 31, v26
	v_addc_co_u32_e32 v19, vcc, 0, v25, vcc
	v_lshlrev_b64 v[26:27], 2, v[26:27]
	v_add_co_u32_e32 v26, vcc, v22, v26
	v_addc_co_u32_e32 v27, vcc, v23, v27, vcc
	v_cmp_lt_i32_e32 vcc, v18, v20
	v_cndmask_b32_e32 v19, v27, v19, vcc
	v_cndmask_b32_e32 v18, v26, v7, vcc
	global_load_dword v7, v[18:19], off
.LBB21_21:
	s_or_b64 exec, exec, s[0:1]
	v_or_b32_e32 v18, 0x800, v16
	v_cmp_lt_i32_e32 vcc, v18, v17
	s_and_saveexec_b64 s[0:1], vcc
	s_cbranch_execz .LBB21_23
; %bb.22:
	v_lshlrev_b32_e32 v8, 2, v18
	v_sub_u32_e32 v26, v18, v20
	v_add_co_u32_e32 v8, vcc, v24, v8
	v_ashrrev_i32_e32 v27, 31, v26
	v_addc_co_u32_e32 v19, vcc, 0, v25, vcc
	v_lshlrev_b64 v[26:27], 2, v[26:27]
	v_add_co_u32_e32 v26, vcc, v22, v26
	v_addc_co_u32_e32 v27, vcc, v23, v27, vcc
	v_cmp_lt_i32_e32 vcc, v18, v20
	v_cndmask_b32_e32 v19, v27, v19, vcc
	v_cndmask_b32_e32 v18, v26, v8, vcc
	global_load_dword v8, v[18:19], off
.LBB21_23:
	s_or_b64 exec, exec, s[0:1]
	v_add_u32_e32 v18, 0x900, v16
	v_cmp_lt_i32_e32 vcc, v18, v17
	s_and_saveexec_b64 s[0:1], vcc
	s_cbranch_execz .LBB21_25
; %bb.24:
	v_lshlrev_b32_e32 v9, 2, v18
	v_sub_u32_e32 v26, v18, v20
	v_add_co_u32_e32 v9, vcc, v24, v9
	v_ashrrev_i32_e32 v27, 31, v26
	v_addc_co_u32_e32 v19, vcc, 0, v25, vcc
	v_lshlrev_b64 v[26:27], 2, v[26:27]
	v_add_co_u32_e32 v26, vcc, v22, v26
	v_addc_co_u32_e32 v27, vcc, v23, v27, vcc
	v_cmp_lt_i32_e32 vcc, v18, v20
	v_cndmask_b32_e32 v19, v27, v19, vcc
	v_cndmask_b32_e32 v18, v26, v9, vcc
	global_load_dword v9, v[18:19], off
.LBB21_25:
	s_or_b64 exec, exec, s[0:1]
	v_add_u32_e32 v18, 0xa00, v16
	;; [unrolled: 19-line block ×3, first 2 shown]
	v_cmp_lt_i32_e32 vcc, v18, v17
	s_and_saveexec_b64 s[0:1], vcc
	s_cbranch_execz .LBB21_29
; %bb.28:
	v_lshlrev_b32_e32 v11, 2, v18
	v_sub_u32_e32 v26, v18, v20
	v_add_co_u32_e32 v11, vcc, v24, v11
	v_ashrrev_i32_e32 v27, 31, v26
	v_addc_co_u32_e32 v19, vcc, 0, v25, vcc
	v_lshlrev_b64 v[26:27], 2, v[26:27]
	v_add_co_u32_e32 v26, vcc, v22, v26
	v_addc_co_u32_e32 v27, vcc, v23, v27, vcc
	v_cmp_lt_i32_e32 vcc, v18, v20
	v_cndmask_b32_e32 v19, v27, v19, vcc
	v_cndmask_b32_e32 v18, v26, v11, vcc
	global_load_dword v11, v[18:19], off
.LBB21_29:
	s_or_b64 exec, exec, s[0:1]
	v_or_b32_e32 v18, 0xc00, v16
	v_cmp_lt_i32_e32 vcc, v18, v17
	s_and_saveexec_b64 s[0:1], vcc
	s_cbranch_execz .LBB21_31
; %bb.30:
	v_lshlrev_b32_e32 v12, 2, v18
	v_sub_u32_e32 v26, v18, v20
	v_add_co_u32_e32 v12, vcc, v24, v12
	v_ashrrev_i32_e32 v27, 31, v26
	v_addc_co_u32_e32 v19, vcc, 0, v25, vcc
	v_lshlrev_b64 v[26:27], 2, v[26:27]
	v_add_co_u32_e32 v26, vcc, v22, v26
	v_addc_co_u32_e32 v27, vcc, v23, v27, vcc
	v_cmp_lt_i32_e32 vcc, v18, v20
	v_cndmask_b32_e32 v19, v27, v19, vcc
	v_cndmask_b32_e32 v18, v26, v12, vcc
	global_load_dword v12, v[18:19], off
.LBB21_31:
	s_or_b64 exec, exec, s[0:1]
	v_add_u32_e32 v18, 0xd00, v16
	v_cmp_lt_i32_e32 vcc, v18, v17
	s_and_saveexec_b64 s[0:1], vcc
	s_cbranch_execz .LBB21_33
; %bb.32:
	v_lshlrev_b32_e32 v13, 2, v18
	v_sub_u32_e32 v26, v18, v20
	v_add_co_u32_e32 v13, vcc, v24, v13
	v_ashrrev_i32_e32 v27, 31, v26
	v_addc_co_u32_e32 v19, vcc, 0, v25, vcc
	v_lshlrev_b64 v[26:27], 2, v[26:27]
	v_add_co_u32_e32 v26, vcc, v22, v26
	v_addc_co_u32_e32 v27, vcc, v23, v27, vcc
	v_cmp_lt_i32_e32 vcc, v18, v20
	v_cndmask_b32_e32 v19, v27, v19, vcc
	v_cndmask_b32_e32 v18, v26, v13, vcc
	global_load_dword v13, v[18:19], off
.LBB21_33:
	s_or_b64 exec, exec, s[0:1]
	v_add_u32_e32 v18, 0xe00, v16
	;; [unrolled: 19-line block ×3, first 2 shown]
	v_cmp_lt_i32_e32 vcc, v18, v17
	s_and_saveexec_b64 s[0:1], vcc
	s_cbranch_execz .LBB21_37
; %bb.36:
	v_lshlrev_b32_e32 v15, 2, v18
	v_sub_u32_e32 v26, v18, v20
	v_add_co_u32_e32 v15, vcc, v24, v15
	v_ashrrev_i32_e32 v27, 31, v26
	v_addc_co_u32_e32 v19, vcc, 0, v25, vcc
	v_lshlrev_b64 v[26:27], 2, v[26:27]
	v_add_co_u32_e32 v26, vcc, v22, v26
	v_addc_co_u32_e32 v27, vcc, v23, v27, vcc
	v_cmp_lt_i32_e32 vcc, v18, v20
	v_cndmask_b32_e32 v19, v27, v19, vcc
	v_cndmask_b32_e32 v18, v26, v15, vcc
	global_load_dword v15, v[18:19], off
.LBB21_37:
	s_or_b64 exec, exec, s[0:1]
	v_lshlrev_b32_e32 v18, 2, v16
	s_waitcnt vmcnt(0)
	ds_write2st64_b32 v18, v0, v1 offset0:76 offset1:80
	ds_write2st64_b32 v18, v2, v3 offset0:84 offset1:88
	;; [unrolled: 1-line block ×8, first 2 shown]
	v_lshlrev_b32_e32 v0, 4, v16
	v_min_i32_e32 v1, v17, v0
	v_lshlrev_b32_e32 v0, 2, v20
	v_add_u32_e32 v5, 0x4800, v0
	v_sub_u32_e32 v0, v1, v21
	v_max_i32_e32 v0, 0, v0
	v_min_i32_e32 v2, v20, v1
	v_cmp_lt_i32_e32 vcc, v0, v2
	s_waitcnt lgkmcnt(0)
	s_barrier
	s_and_saveexec_b64 s[0:1], vcc
	s_cbranch_execz .LBB21_41
; %bb.38:
	v_lshl_add_u32 v3, v1, 2, v5
	v_add_u32_e32 v3, 0x400, v3
	s_mov_b64 s[2:3], 0
.LBB21_39:                              ; =>This Inner Loop Header: Depth=1
	v_add_u32_e32 v4, v2, v0
	v_ashrrev_i32_e32 v4, 1, v4
	v_not_b32_e32 v7, v4
	v_lshlrev_b32_e32 v6, 2, v4
	v_lshl_add_u32 v7, v7, 2, v3
	ds_read_b32 v6, v6 offset:19456
	ds_read_b32 v7, v7
	v_add_u32_e32 v8, 1, v4
	s_waitcnt lgkmcnt(0)
	v_cmp_lt_i32_e32 vcc, v7, v6
	v_cndmask_b32_e32 v2, v2, v4, vcc
	v_cndmask_b32_e32 v0, v8, v0, vcc
	v_cmp_ge_i32_e32 vcc, v0, v2
	s_or_b64 s[2:3], vcc, s[2:3]
	s_andn2_b64 exec, exec, s[2:3]
	s_cbranch_execnz .LBB21_39
; %bb.40:
	s_or_b64 exec, exec, s[2:3]
.LBB21_41:
	s_or_b64 exec, exec, s[0:1]
	v_sub_u32_e32 v6, v1, v0
	v_add_u32_e32 v3, 0x4800, v18
	v_add_u32_e32 v26, 0x4c00, v18
	v_cmp_lt_i32_e32 vcc, v6, v21
	v_mov_b32_e32 v4, 0
	s_and_saveexec_b64 s[2:3], vcc
	s_cbranch_execz .LBB21_71
; %bb.42:
	v_lshl_add_u32 v7, v6, 2, v5
	ds_read_b32 v4, v7 offset:1024
	v_cmp_lt_i32_e32 vcc, 0, v0
	v_mov_b32_e32 v2, 0
	v_mov_b32_e32 v8, v0
	s_and_saveexec_b64 s[0:1], vcc
	s_cbranch_execnz .LBB21_47
; %bb.43:
	s_or_b64 exec, exec, s[0:1]
	v_cmp_lt_i32_e32 vcc, v2, v8
	s_and_saveexec_b64 s[0:1], vcc
	s_cbranch_execnz .LBB21_48
.LBB21_44:
	s_or_b64 exec, exec, s[0:1]
	v_cmp_lt_i32_e32 vcc, v2, v8
	s_and_saveexec_b64 s[0:1], vcc
	s_cbranch_execnz .LBB21_49
.LBB21_45:
	s_or_b64 exec, exec, s[0:1]
	v_cmp_lt_i32_e32 vcc, v2, v8
	s_and_saveexec_b64 s[0:1], vcc
	s_cbranch_execnz .LBB21_50
.LBB21_46:
	s_or_b64 exec, exec, s[0:1]
	v_cmp_lt_i32_e32 vcc, v2, v8
	s_and_saveexec_b64 s[0:1], vcc
	s_cbranch_execnz .LBB21_51
	s_branch .LBB21_54
.LBB21_47:
	s_movk_i32 s4, 0x1ff
	v_mul_lo_u32 v2, v0, s4
	v_ashrrev_i32_e32 v8, 9, v2
	v_lshlrev_b32_e32 v2, 2, v8
	ds_read_b32 v2, v2 offset:19456
	v_add_u32_e32 v9, 1, v8
	s_waitcnt lgkmcnt(0)
	v_cmp_lt_i32_e32 vcc, v2, v4
	v_cndmask_b32_e32 v2, 0, v9, vcc
	v_cndmask_b32_e32 v8, v8, v0, vcc
	s_or_b64 exec, exec, s[0:1]
	v_cmp_lt_i32_e32 vcc, v2, v8
	s_and_saveexec_b64 s[0:1], vcc
	s_cbranch_execz .LBB21_44
.LBB21_48:
	v_sub_u32_e32 v9, v2, v8
	v_lshl_add_u32 v9, v8, 7, v9
	v_ashrrev_i32_e32 v9, 7, v9
	v_lshlrev_b32_e32 v10, 2, v9
	ds_read_b32 v10, v10 offset:19456
	v_add_u32_e32 v11, 1, v9
	s_waitcnt lgkmcnt(0)
	v_cmp_lt_i32_e32 vcc, v10, v4
	v_cndmask_b32_e32 v2, v2, v11, vcc
	v_cndmask_b32_e32 v8, v9, v8, vcc
	s_or_b64 exec, exec, s[0:1]
	v_cmp_lt_i32_e32 vcc, v2, v8
	s_and_saveexec_b64 s[0:1], vcc
	s_cbranch_execz .LBB21_45
.LBB21_49:
	v_sub_u32_e32 v9, v2, v8
	v_lshl_add_u32 v9, v8, 5, v9
	v_ashrrev_i32_e32 v9, 5, v9
	v_lshlrev_b32_e32 v10, 2, v9
	ds_read_b32 v10, v10 offset:19456
	v_add_u32_e32 v11, 1, v9
	s_waitcnt lgkmcnt(0)
	v_cmp_lt_i32_e32 vcc, v10, v4
	v_cndmask_b32_e32 v2, v2, v11, vcc
	v_cndmask_b32_e32 v8, v9, v8, vcc
	s_or_b64 exec, exec, s[0:1]
	v_cmp_lt_i32_e32 vcc, v2, v8
	s_and_saveexec_b64 s[0:1], vcc
	s_cbranch_execz .LBB21_46
.LBB21_50:
	v_sub_u32_e32 v9, v2, v8
	v_lshl_add_u32 v9, v8, 4, v9
	v_ashrrev_i32_e32 v9, 4, v9
	v_lshlrev_b32_e32 v10, 2, v9
	ds_read_b32 v10, v10 offset:19456
	v_add_u32_e32 v11, 1, v9
	s_waitcnt lgkmcnt(0)
	v_cmp_lt_i32_e32 vcc, v10, v4
	v_cndmask_b32_e32 v2, v2, v11, vcc
	v_cndmask_b32_e32 v8, v9, v8, vcc
	s_or_b64 exec, exec, s[0:1]
	v_cmp_lt_i32_e32 vcc, v2, v8
	s_and_saveexec_b64 s[0:1], vcc
	s_cbranch_execz .LBB21_54
.LBB21_51:
	s_mov_b64 s[4:5], 0
.LBB21_52:                              ; =>This Inner Loop Header: Depth=1
	v_sub_u32_e32 v9, v2, v8
	v_lshl_add_u32 v9, v8, 1, v9
	v_ashrrev_i32_e32 v9, 1, v9
	v_lshlrev_b32_e32 v10, 2, v9
	ds_read_b32 v10, v10 offset:19456
	v_add_u32_e32 v11, 1, v9
	s_waitcnt lgkmcnt(0)
	v_cmp_lt_i32_e32 vcc, v10, v4
	v_cndmask_b32_e32 v2, v2, v11, vcc
	v_cndmask_b32_e32 v8, v9, v8, vcc
	v_cmp_ge_i32_e32 vcc, v2, v8
	s_or_b64 s[4:5], vcc, s[4:5]
	s_andn2_b64 exec, exec, s[4:5]
	s_cbranch_execnz .LBB21_52
; %bb.53:
	s_or_b64 exec, exec, s[4:5]
.LBB21_54:
	s_or_b64 exec, exec, s[0:1]
	v_add_u32_e32 v7, 0x400, v7
	v_cmp_lt_i32_e32 vcc, 0, v6
	v_mov_b32_e32 v8, 0
	v_mov_b32_e32 v9, v6
	s_and_saveexec_b64 s[0:1], vcc
	s_cbranch_execnz .LBB21_59
; %bb.55:
	s_or_b64 exec, exec, s[0:1]
	v_cmp_lt_i32_e32 vcc, v8, v9
	s_and_saveexec_b64 s[0:1], vcc
	s_cbranch_execnz .LBB21_60
.LBB21_56:
	s_or_b64 exec, exec, s[0:1]
	v_cmp_lt_i32_e32 vcc, v8, v9
	s_and_saveexec_b64 s[0:1], vcc
	s_cbranch_execnz .LBB21_61
.LBB21_57:
	s_or_b64 exec, exec, s[0:1]
	v_cmp_lt_i32_e32 vcc, v8, v9
	s_and_saveexec_b64 s[0:1], vcc
	s_cbranch_execnz .LBB21_62
.LBB21_58:
	s_or_b64 exec, exec, s[0:1]
	v_cmp_lt_i32_e32 vcc, v8, v9
	s_and_saveexec_b64 s[0:1], vcc
	s_cbranch_execnz .LBB21_63
	s_branch .LBB21_66
.LBB21_59:
	s_movk_i32 s4, 0x1ff
	v_mul_lo_u32 v8, v6, s4
	v_ashrrev_i32_e32 v9, 9, v8
	v_lshl_add_u32 v8, v9, 2, v5
	ds_read_b32 v8, v8 offset:1024
	v_add_u32_e32 v10, 1, v9
	s_waitcnt lgkmcnt(0)
	v_cmp_lt_i32_e32 vcc, v8, v4
	v_cndmask_b32_e32 v8, 0, v10, vcc
	v_cndmask_b32_e32 v9, v9, v6, vcc
	s_or_b64 exec, exec, s[0:1]
	v_cmp_lt_i32_e32 vcc, v8, v9
	s_and_saveexec_b64 s[0:1], vcc
	s_cbranch_execz .LBB21_56
.LBB21_60:
	v_sub_u32_e32 v10, v8, v9
	v_lshl_add_u32 v10, v9, 7, v10
	v_ashrrev_i32_e32 v10, 7, v10
	v_lshl_add_u32 v11, v10, 2, v5
	ds_read_b32 v11, v11 offset:1024
	v_add_u32_e32 v12, 1, v10
	s_waitcnt lgkmcnt(0)
	v_cmp_lt_i32_e32 vcc, v11, v4
	v_cndmask_b32_e32 v8, v8, v12, vcc
	v_cndmask_b32_e32 v9, v10, v9, vcc
	s_or_b64 exec, exec, s[0:1]
	v_cmp_lt_i32_e32 vcc, v8, v9
	s_and_saveexec_b64 s[0:1], vcc
	s_cbranch_execz .LBB21_57
.LBB21_61:
	v_sub_u32_e32 v10, v8, v9
	v_lshl_add_u32 v10, v9, 5, v10
	v_ashrrev_i32_e32 v10, 5, v10
	v_lshl_add_u32 v11, v10, 2, v5
	ds_read_b32 v11, v11 offset:1024
	v_add_u32_e32 v12, 1, v10
	s_waitcnt lgkmcnt(0)
	v_cmp_lt_i32_e32 vcc, v11, v4
	v_cndmask_b32_e32 v8, v8, v12, vcc
	v_cndmask_b32_e32 v9, v10, v9, vcc
	s_or_b64 exec, exec, s[0:1]
	v_cmp_lt_i32_e32 vcc, v8, v9
	s_and_saveexec_b64 s[0:1], vcc
	s_cbranch_execz .LBB21_58
.LBB21_62:
	v_sub_u32_e32 v10, v8, v9
	v_lshl_add_u32 v10, v9, 4, v10
	v_ashrrev_i32_e32 v10, 4, v10
	v_lshl_add_u32 v11, v10, 2, v5
	ds_read_b32 v11, v11 offset:1024
	v_add_u32_e32 v12, 1, v10
	s_waitcnt lgkmcnt(0)
	v_cmp_lt_i32_e32 vcc, v11, v4
	v_cndmask_b32_e32 v8, v8, v12, vcc
	v_cndmask_b32_e32 v9, v10, v9, vcc
	s_or_b64 exec, exec, s[0:1]
	v_cmp_lt_i32_e32 vcc, v8, v9
	s_and_saveexec_b64 s[0:1], vcc
	s_cbranch_execz .LBB21_66
.LBB21_63:
	v_add_u32_e32 v5, 0x400, v5
	s_mov_b64 s[4:5], 0
.LBB21_64:                              ; =>This Inner Loop Header: Depth=1
	v_sub_u32_e32 v10, v8, v9
	v_lshl_add_u32 v10, v9, 1, v10
	v_ashrrev_i32_e32 v10, 1, v10
	v_lshl_add_u32 v11, v10, 2, v5
	ds_read_b32 v11, v11
	v_add_u32_e32 v12, 1, v10
	s_waitcnt lgkmcnt(0)
	v_cmp_lt_i32_e32 vcc, v11, v4
	v_cndmask_b32_e32 v8, v8, v12, vcc
	v_cndmask_b32_e32 v9, v10, v9, vcc
	v_cmp_ge_i32_e32 vcc, v8, v9
	s_or_b64 s[4:5], vcc, s[4:5]
	s_andn2_b64 exec, exec, s[4:5]
	s_cbranch_execnz .LBB21_64
; %bb.65:
	s_or_b64 exec, exec, s[4:5]
.LBB21_66:
	s_or_b64 exec, exec, s[0:1]
	v_sub_u32_e32 v0, v0, v2
	v_sub_u32_e32 v9, v6, v8
	v_add_u32_e32 v5, v9, v0
	v_ashrrev_i32_e32 v0, 1, v5
	v_max_i32_e32 v0, v0, v9
	v_add3_u32 v8, v8, v0, 1
	v_min_i32_e32 v8, v8, v21
	v_sub_u32_e32 v8, v8, v6
	v_cmp_lt_i32_e32 vcc, 0, v8
	v_mov_b32_e32 v6, 0
	s_and_saveexec_b64 s[0:1], vcc
	s_cbranch_execz .LBB21_70
; %bb.67:
	s_mov_b64 s[4:5], 0
	v_mov_b32_e32 v6, 0
.LBB21_68:                              ; =>This Inner Loop Header: Depth=1
	v_add_u32_e32 v10, v6, v8
	v_ashrrev_i32_e32 v10, 1, v10
	v_lshl_add_u32 v11, v10, 2, v7
	ds_read_b32 v11, v11
	v_add_u32_e32 v12, 1, v10
	s_waitcnt lgkmcnt(0)
	v_cmp_gt_i32_e32 vcc, v11, v4
	v_cndmask_b32_e32 v6, v12, v6, vcc
	v_cndmask_b32_e32 v8, v8, v10, vcc
	v_cmp_ge_i32_e32 vcc, v6, v8
	s_or_b64 s[4:5], vcc, s[4:5]
	s_andn2_b64 exec, exec, s[4:5]
	s_cbranch_execnz .LBB21_68
; %bb.69:
	s_or_b64 exec, exec, s[4:5]
.LBB21_70:
	s_or_b64 exec, exec, s[0:1]
	s_waitcnt lgkmcnt(0)
	v_add_u32_e32 v4, v6, v9
	v_min_i32_e32 v6, v4, v0
	v_sub_u32_e32 v5, v5, v6
	v_add_u32_e32 v6, 1, v6
	v_cmp_eq_u32_e32 vcc, v5, v6
	v_cmp_lt_i32_e64 s[0:1], v0, v4
	s_and_b64 s[0:1], s[0:1], vcc
	v_cndmask_b32_e64 v4, 0, 1, s[0:1]
	v_add_u32_e32 v0, v5, v2
.LBB21_71:
	s_or_b64 exec, exec, s[2:3]
	v_add_u32_e32 v1, v4, v1
	v_sub_u32_e32 v6, v1, v0
	v_lshlrev_b32_e32 v2, 16, v20
	v_or_b32_e32 v2, v2, v21
	v_lshl_or_b32 v4, v0, 16, v6
	v_cmp_eq_u32_e64 s[0:1], 0, v16
	v_cndmask_b32_e64 v2, v4, v2, s[0:1]
	v_add_u32_e32 v4, -1, v16
	v_mov_b32_e32 v5, 0xff
	v_cndmask_b32_e64 v4, v4, v5, s[0:1]
	v_lshlrev_b32_e32 v4, 2, v4
	ds_write_b32 v4, v2 offset:18432
	v_add_u32_e32 v2, v6, v20
	s_waitcnt lgkmcnt(0)
	s_barrier
	v_lshlrev_b32_e32 v5, 2, v0
	v_lshlrev_b32_e32 v4, 2, v2
	ds_read_b32 v17, v3
	ds_read_b32 v28, v5 offset:19456
	ds_read_b32 v29, v4 offset:19456
	s_waitcnt lgkmcnt(2)
	v_cmp_le_i32_sdwa s[6:7], v17, v6 src0_sel:WORD_0 src1_sel:DWORD
	v_cmp_le_i32_sdwa s[4:5], sext(v17), v0 src0_sel:WORD_1 src1_sel:DWORD
	s_waitcnt lgkmcnt(0)
	v_cmp_lt_i32_e32 vcc, v29, v28
	v_cndmask_b32_e64 v3, 0, 1, vcc
	v_cndmask_b32_e64 v6, 0, 1, s[4:5]
	s_or_b64 vcc, s[4:5], s[6:7]
	v_cndmask_b32_e32 v3, v3, v6, vcc
	v_and_b32_e32 v3, 1, v3
	v_cmp_eq_u32_e64 s[2:3], 1, v3
	s_xor_b64 s[10:11], s[2:3], -1
	v_mov_b32_e32 v30, v28
	s_and_saveexec_b64 s[8:9], s[10:11]
	s_cbranch_execz .LBB21_73
; %bb.72:
	ds_read_b32 v30, v5 offset:19460
	v_add_u32_e32 v0, 1, v0
.LBB21_73:
	s_or_b64 exec, exec, s[8:9]
	s_xor_b64 s[8:9], s[4:5], -1
	v_cmp_lt_i32_e64 s[4:5], v28, v29
	v_cndmask_b32_e64 v3, 0, 1, s[4:5]
	s_and_b64 s[4:5], s[6:7], s[8:9]
	v_cndmask_b32_e64 v5, 0, 1, s[4:5]
	v_cndmask_b32_e32 v3, v3, v5, vcc
	v_and_b32_e32 v3, 1, v3
	v_cmp_eq_u32_e32 vcc, 1, v3
	s_xor_b64 s[6:7], vcc, -1
	v_mov_b32_e32 v31, v29
	s_and_saveexec_b64 s[4:5], s[6:7]
	s_cbranch_execz .LBB21_75
; %bb.74:
	ds_read_b32 v31, v4 offset:19460
	v_add_u32_e32 v2, 1, v2
.LBB21_75:
	s_or_b64 exec, exec, s[4:5]
	v_add_u32_sdwa v27, v17, v20 dst_sel:DWORD dst_unused:UNUSED_PAD src0_sel:WORD_0 src1_sel:DWORD
	v_cmp_ge_i32_e32 vcc, v2, v27
	v_cmp_ge_i32_sdwa s[8:9], v0, sext(v17) src0_sel:DWORD src1_sel:WORD_1
	s_waitcnt lgkmcnt(0)
	v_cmp_lt_i32_e64 s[4:5], v31, v30
	v_cndmask_b32_e64 v3, 0, 1, s[8:9]
	v_cndmask_b32_e64 v4, 0, 1, s[4:5]
	s_or_b64 s[4:5], s[8:9], vcc
	v_cndmask_b32_e64 v3, v4, v3, s[4:5]
	v_and_b32_e32 v3, 1, v3
	v_cmp_eq_u32_e64 s[4:5], 1, v3
	s_xor_b64 s[10:11], s[4:5], -1
	v_mov_b32_e32 v32, v30
	v_mov_b32_e32 v3, v0
	s_and_saveexec_b64 s[6:7], s[10:11]
	s_cbranch_execz .LBB21_77
; %bb.76:
	v_lshlrev_b32_e32 v3, 2, v0
	ds_read_b32 v32, v3 offset:19460
	v_add_u32_e32 v3, 1, v0
.LBB21_77:
	s_or_b64 exec, exec, s[6:7]
	v_cmp_lt_i32_e64 s[6:7], v30, v31
	s_or_b64 s[6:7], vcc, s[6:7]
	s_xor_b64 s[8:9], s[8:9], -1
	s_and_b64 s[6:7], s[8:9], s[6:7]
	s_xor_b64 s[8:9], s[6:7], -1
	v_mov_b32_e32 v33, v31
	v_mov_b32_e32 v4, v2
	s_and_saveexec_b64 s[6:7], s[8:9]
	s_cbranch_execz .LBB21_79
; %bb.78:
	v_lshlrev_b32_e32 v4, 2, v2
	ds_read_b32 v33, v4 offset:19460
	v_add_u32_e32 v4, 1, v2
.LBB21_79:
	s_or_b64 exec, exec, s[6:7]
	v_cmp_ge_i32_e32 vcc, v4, v27
	v_cmp_ge_i32_sdwa s[10:11], v3, sext(v17) src0_sel:DWORD src1_sel:WORD_1
	s_waitcnt lgkmcnt(0)
	v_cmp_lt_i32_e64 s[6:7], v33, v32
	v_cndmask_b32_e64 v5, 0, 1, s[10:11]
	v_cndmask_b32_e64 v6, 0, 1, s[6:7]
	s_or_b64 s[6:7], s[10:11], vcc
	v_cndmask_b32_e64 v5, v6, v5, s[6:7]
	v_and_b32_e32 v5, 1, v5
	v_cmp_eq_u32_e64 s[6:7], 1, v5
	s_xor_b64 s[12:13], s[6:7], -1
	v_mov_b32_e32 v34, v32
	v_mov_b32_e32 v5, v3
	s_and_saveexec_b64 s[8:9], s[12:13]
	s_cbranch_execz .LBB21_81
; %bb.80:
	v_lshlrev_b32_e32 v5, 2, v3
	ds_read_b32 v34, v5 offset:19460
	v_add_u32_e32 v5, 1, v3
.LBB21_81:
	s_or_b64 exec, exec, s[8:9]
	v_cmp_lt_i32_e64 s[8:9], v32, v33
	s_or_b64 s[8:9], vcc, s[8:9]
	s_xor_b64 s[10:11], s[10:11], -1
	s_and_b64 s[8:9], s[10:11], s[8:9]
	s_xor_b64 s[10:11], s[8:9], -1
	v_mov_b32_e32 v35, v33
	v_mov_b32_e32 v6, v4
	s_and_saveexec_b64 s[8:9], s[10:11]
	s_cbranch_execz .LBB21_83
; %bb.82:
	v_lshlrev_b32_e32 v6, 2, v4
	ds_read_b32 v35, v6 offset:19460
	v_add_u32_e32 v6, 1, v4
.LBB21_83:
	s_or_b64 exec, exec, s[8:9]
	;; [unrolled: 36-line block ×14, first 2 shown]
	v_add_u32_e32 v73, v61, v59
	v_add_u32_sdwa v74, v27, sext(v17) dst_sel:DWORD dst_unused:UNUSED_PAD src0_sel:DWORD src1_sel:WORD_1
	v_cmp_lt_i32_e32 vcc, v73, v74
	v_add_u32_e32 v71, v72, v71
	v_cndmask_b32_e64 v73, 0, 1, vcc
	v_cmp_lt_i32_e32 vcc, v71, v74
	v_add_u32_e32 v69, v70, v69
	v_cndmask_b32_e64 v71, 0, 1, vcc
	;; [unrolled: 3-line block ×5, first 2 shown]
	v_cmp_lt_i32_e32 vcc, v63, v74
	v_add_u32_e32 v19, v62, v19
	v_add_u32_e32 v3, v4, v3
	;; [unrolled: 1-line block ×3, first 2 shown]
	v_cndmask_b32_e64 v63, 0, 1, vcc
	v_cmp_lt_i32_e32 vcc, v19, v74
	v_add_u32_e32 v15, v18, v15
	v_add_u32_e32 v7, v8, v7
	v_add_u32_e32 v5, v6, v5
	v_cmp_lt_i32_e64 s[40:41], v3, v74
	v_cmp_lt_i32_e64 s[42:43], v0, v74
	v_add_u32_e32 v1, v1, v20
	v_cndmask_b32_e64 v19, 0, 1, vcc
	v_cmp_lt_i32_e32 vcc, v15, v74
	v_add_u32_e32 v11, v12, v11
	v_add_u32_e32 v9, v10, v9
	v_cmp_lt_i32_e64 s[36:37], v7, v74
	v_cmp_lt_i32_e64 s[38:39], v5, v74
	v_cndmask_b32_e64 v3, 0, 1, s[40:41]
	v_cndmask_b32_e64 v0, 0, 1, s[42:43]
	v_cmp_lt_i32_e64 s[44:45], v1, v74
	v_cndmask_b32_e64 v15, 0, 1, vcc
	v_cmp_lt_i32_e32 vcc, v11, v74
	v_cmp_lt_i32_e64 s[34:35], v9, v74
	v_cndmask_b32_e64 v7, 0, 1, s[36:37]
	v_cndmask_b32_e64 v5, 0, 1, s[38:39]
	v_lshlrev_b32_e32 v3, 2, v3
	v_lshlrev_b32_e32 v0, 1, v0
	v_cndmask_b32_e64 v1, 0, 1, s[44:45]
	v_add_u32_e32 v13, v14, v13
	v_cndmask_b32_e64 v11, 0, 1, vcc
	v_cndmask_b32_e64 v9, 0, 1, s[34:35]
	v_lshlrev_b32_e32 v7, 4, v7
	v_lshlrev_b32_e32 v5, 3, v5
	v_or3_b32 v0, v0, v1, v3
	v_lshlrev_b32_e32 v11, 6, v11
	v_lshlrev_b32_e32 v9, 5, v9
	v_or3_b32 v0, v0, v5, v7
	v_cmp_lt_i32_e32 vcc, v13, v74
	v_lshlrev_b32_e32 v68, 12, v67
	v_or3_b32 v67, v0, v9, v11
	v_cndmask_b32_e64 v0, 0, 1, vcc
	v_lshlrev_b32_e32 v19, 9, v19
	v_lshlrev_b32_e32 v15, 8, v15
	v_lshl_or_b32 v66, v0, 7, v67
	v_lshlrev_b32_e32 v70, 11, v65
	v_lshlrev_b32_e32 v63, 10, v63
	v_or3_b32 v65, v15, v19, v66
	v_lshlrev_b32_e32 v69, 13, v69
	v_or3_b32 v64, v63, v70, v65
	v_lshlrev_b32_e32 v73, 15, v73
	v_lshlrev_b32_e32 v71, 14, v71
	v_or3_b32 v63, v68, v69, v64
	v_or3_b32 v62, v71, v73, v63
	v_bcnt_u32_b32 v8, v62, 0
	s_cmp_lg_u32 s58, 0
	v_mov_b32_e32 v9, 0
	s_waitcnt lgkmcnt(0)
	s_barrier
	s_cbranch_scc0 .LBB21_160
; %bb.132:
	v_mov_b32_dpp v1, v8 row_shr:1 row_mask:0xf bank_mask:0xf
	v_mbcnt_lo_u32_b32 v0, -1, 0
	v_add_co_u32_e32 v1, vcc, v1, v8
	v_mbcnt_hi_u32_b32 v18, -1, v0
	v_mov_b32_dpp v2, v9 row_shr:1 row_mask:0xf bank_mask:0xf
	v_addc_co_u32_e64 v3, s[46:47], 0, 0, vcc
	v_add_co_u32_e32 v4, vcc, 0, v1
	v_and_b32_e32 v0, 15, v18
	v_addc_co_u32_e32 v2, vcc, v2, v3, vcc
	v_cmp_eq_u32_e32 vcc, 0, v0
	v_cndmask_b32_e32 v1, v1, v8, vcc
	v_cndmask_b32_e64 v2, v2, 0, vcc
	v_cndmask_b32_e32 v3, v4, v8, vcc
	v_mov_b32_dpp v4, v1 row_shr:2 row_mask:0xf bank_mask:0xf
	v_mov_b32_dpp v5, v2 row_shr:2 row_mask:0xf bank_mask:0xf
	v_add_co_u32_e32 v4, vcc, v4, v3
	v_addc_co_u32_e32 v5, vcc, v5, v2, vcc
	v_cmp_lt_u32_e32 vcc, 1, v0
	v_cndmask_b32_e32 v1, v1, v4, vcc
	v_cndmask_b32_e32 v2, v2, v5, vcc
	v_cndmask_b32_e32 v3, v3, v4, vcc
	v_mov_b32_dpp v4, v1 row_shr:4 row_mask:0xf bank_mask:0xf
	v_mov_b32_dpp v5, v2 row_shr:4 row_mask:0xf bank_mask:0xf
	v_add_co_u32_e32 v4, vcc, v4, v3
	v_addc_co_u32_e32 v5, vcc, v5, v2, vcc
	v_cmp_lt_u32_e32 vcc, 3, v0
	v_cndmask_b32_e32 v1, v1, v4, vcc
	v_cndmask_b32_e32 v2, v2, v5, vcc
	;; [unrolled: 8-line block ×3, first 2 shown]
	v_cndmask_b32_e32 v2, v4, v6, vcc
	v_mov_b32_dpp v1, v0 row_bcast:15 row_mask:0xf bank_mask:0xf
	v_mov_b32_dpp v5, v3 row_bcast:15 row_mask:0xf bank_mask:0xf
	v_add_co_u32_e32 v4, vcc, v1, v2
	v_and_b32_e32 v7, 16, v18
	v_addc_co_u32_e32 v6, vcc, v5, v3, vcc
	v_cmp_eq_u32_e32 vcc, 0, v7
	v_cndmask_b32_e32 v1, v6, v3, vcc
	v_cndmask_b32_e32 v0, v4, v0, vcc
	v_cmp_eq_u32_e64 s[46:47], 0, v18
	v_mov_b32_dpp v7, v1 row_bcast:31 row_mask:0xf bank_mask:0xf
	v_mov_b32_dpp v5, v0 row_bcast:31 row_mask:0xf bank_mask:0xf
	v_cmp_ne_u32_e64 s[48:49], 0, v18
	v_pk_mov_b32 v[0:1], v[8:9], v[8:9] op_sel:[0,1]
	s_and_saveexec_b64 s[50:51], s[48:49]
; %bb.133:
	v_cndmask_b32_e32 v1, v6, v3, vcc
	v_cndmask_b32_e32 v0, v4, v2, vcc
	v_cmp_lt_u32_e32 vcc, 31, v18
	v_cndmask_b32_e32 v3, 0, v5, vcc
	v_cndmask_b32_e32 v2, 0, v7, vcc
	v_add_co_u32_e32 v0, vcc, v3, v0
	v_addc_co_u32_e32 v1, vcc, v2, v1, vcc
; %bb.134:
	s_or_b64 exec, exec, s[50:51]
	v_and_b32_e32 v3, 0x3c0, v16
	v_min_u32_e32 v3, 0xc0, v3
	v_lshrrev_b32_e32 v2, 6, v16
	v_or_b32_e32 v3, 63, v3
	v_cmp_eq_u32_e32 vcc, v3, v16
	v_lshlrev_b32_e32 v2, 3, v2
	s_and_saveexec_b64 s[48:49], vcc
	s_cbranch_execz .LBB21_136
; %bb.135:
	ds_write_b64 v2, v[0:1] offset:18432
.LBB21_136:
	s_or_b64 exec, exec, s[48:49]
	v_cmp_gt_u32_e32 vcc, 4, v16
	s_waitcnt lgkmcnt(0)
	s_barrier
	s_and_saveexec_b64 s[50:51], vcc
	s_cbranch_execz .LBB21_138
; %bb.137:
	v_lshlrev_b32_e32 v1, 3, v16
	ds_read_b64 v[4:5], v1 offset:18432
	v_and_b32_e32 v3, 3, v18
	v_cmp_ne_u32_e64 s[48:49], 1, v3
	s_waitcnt lgkmcnt(0)
	v_mov_b32_dpp v6, v4 row_shr:1 row_mask:0xf bank_mask:0xf
	v_add_co_u32_e32 v6, vcc, v4, v6
	v_addc_co_u32_e32 v10, vcc, 0, v5, vcc
	v_mov_b32_dpp v7, v5 row_shr:1 row_mask:0xf bank_mask:0xf
	v_add_co_u32_e32 v11, vcc, 0, v6
	v_addc_co_u32_e32 v7, vcc, v7, v10, vcc
	v_cmp_eq_u32_e32 vcc, 0, v3
	v_cndmask_b32_e32 v6, v6, v4, vcc
	v_cndmask_b32_e32 v10, v7, v5, vcc
	s_nop 0
	v_mov_b32_dpp v6, v6 row_shr:2 row_mask:0xf bank_mask:0xf
	v_mov_b32_dpp v10, v10 row_shr:2 row_mask:0xf bank_mask:0xf
	v_cndmask_b32_e64 v3, 0, v6, s[48:49]
	v_cndmask_b32_e64 v6, 0, v10, s[48:49]
	v_add_co_u32_e64 v3, s[48:49], v3, v11
	v_addc_co_u32_e64 v6, s[48:49], v6, v7, s[48:49]
	v_cndmask_b32_e32 v5, v6, v5, vcc
	v_cndmask_b32_e32 v4, v3, v4, vcc
	ds_write_b64 v1, v[4:5] offset:18432
.LBB21_138:
	s_or_b64 exec, exec, s[50:51]
	v_cmp_gt_u32_e32 vcc, 64, v16
	v_cmp_lt_u32_e64 s[48:49], 63, v16
	s_waitcnt lgkmcnt(0)
	s_barrier
	s_waitcnt lgkmcnt(0)
                                        ; implicit-def: $vgpr10_vgpr11
	s_and_saveexec_b64 s[50:51], s[48:49]
	s_cbranch_execz .LBB21_140
; %bb.139:
	ds_read_b64 v[10:11], v2 offset:18424
	s_waitcnt lgkmcnt(0)
	v_add_co_u32_e64 v0, s[48:49], v10, v0
.LBB21_140:
	s_or_b64 exec, exec, s[50:51]
	v_add_u32_e32 v1, -1, v18
	v_and_b32_e32 v2, 64, v18
	v_cmp_lt_i32_e64 s[48:49], v1, v2
	v_cndmask_b32_e64 v1, v1, v18, s[48:49]
	v_lshlrev_b32_e32 v1, 2, v1
	ds_bpermute_b32 v11, v1, v0
	s_and_saveexec_b64 s[60:61], vcc
	s_cbranch_execz .LBB21_159
; %bb.141:
	v_mov_b32_e32 v3, 0
	ds_read_b64 v[0:1], v3 offset:18456
	s_and_saveexec_b64 s[48:49], s[46:47]
	s_cbranch_execz .LBB21_143
; %bb.142:
	s_add_i32 s50, s58, 64
	s_mov_b32 s51, 0
	s_lshl_b64 s[50:51], s[50:51], 4
	s_add_u32 s50, s56, s50
	s_addc_u32 s51, s57, s51
	v_mov_b32_e32 v2, 1
	v_pk_mov_b32 v[4:5], s[50:51], s[50:51] op_sel:[0,1]
	s_waitcnt lgkmcnt(0)
	;;#ASMSTART
	global_store_dwordx4 v[4:5], v[0:3] off	
s_waitcnt vmcnt(0)
	;;#ASMEND
.LBB21_143:
	s_or_b64 exec, exec, s[48:49]
	v_xad_u32 v12, v18, -1, s58
	v_add_u32_e32 v2, 64, v12
	v_lshlrev_b64 v[4:5], 4, v[2:3]
	v_mov_b32_e32 v2, s57
	v_add_co_u32_e32 v14, vcc, s56, v4
	v_addc_co_u32_e32 v15, vcc, v2, v5, vcc
	;;#ASMSTART
	global_load_dwordx4 v[4:7], v[14:15] off glc	
s_waitcnt vmcnt(0)
	;;#ASMEND
	v_and_b32_e32 v2, 0xff, v5
	v_and_b32_e32 v7, 0xff00, v5
	;; [unrolled: 1-line block ×3, first 2 shown]
	v_or3_b32 v2, 0, v2, v7
	v_or3_b32 v4, v4, 0, 0
	v_and_b32_e32 v5, 0xff000000, v5
	v_or3_b32 v5, v2, v13, v5
	v_or3_b32 v4, v4, 0, 0
	v_cmp_eq_u16_sdwa s[50:51], v6, v3 src0_sel:BYTE_0 src1_sel:DWORD
	s_and_saveexec_b64 s[48:49], s[50:51]
	s_cbranch_execz .LBB21_147
; %bb.144:
	s_mov_b64 s[50:51], 0
	v_mov_b32_e32 v2, 0
.LBB21_145:                             ; =>This Inner Loop Header: Depth=1
	;;#ASMSTART
	global_load_dwordx4 v[4:7], v[14:15] off glc	
s_waitcnt vmcnt(0)
	;;#ASMEND
	v_cmp_ne_u16_sdwa s[62:63], v6, v2 src0_sel:BYTE_0 src1_sel:DWORD
	s_or_b64 s[50:51], s[62:63], s[50:51]
	s_andn2_b64 exec, exec, s[50:51]
	s_cbranch_execnz .LBB21_145
; %bb.146:
	s_or_b64 exec, exec, s[50:51]
.LBB21_147:
	s_or_b64 exec, exec, s[48:49]
	v_and_b32_e32 v69, 63, v18
	v_mov_b32_e32 v68, 2
	v_cmp_ne_u32_e32 vcc, 63, v69
	v_cmp_eq_u16_sdwa s[48:49], v6, v68 src0_sel:BYTE_0 src1_sel:DWORD
	v_lshlrev_b64 v[14:15], v18, -1
	v_addc_co_u32_e32 v7, vcc, 0, v18, vcc
	v_and_b32_e32 v2, s49, v15
	v_lshlrev_b32_e32 v70, 2, v7
	v_or_b32_e32 v2, 0x80000000, v2
	ds_bpermute_b32 v7, v70, v4
	v_and_b32_e32 v3, s48, v14
	v_ffbl_b32_e32 v2, v2
	v_add_u32_e32 v2, 32, v2
	v_ffbl_b32_e32 v3, v3
	v_min_u32_e32 v2, v3, v2
	ds_bpermute_b32 v3, v70, v5
	s_waitcnt lgkmcnt(1)
	v_add_co_u32_e32 v7, vcc, v4, v7
	v_addc_co_u32_e32 v19, vcc, 0, v5, vcc
	v_add_co_u32_e32 v72, vcc, 0, v7
	v_cmp_gt_u32_e64 s[48:49], 62, v69
	s_waitcnt lgkmcnt(0)
	v_addc_co_u32_e32 v3, vcc, v3, v19, vcc
	v_cndmask_b32_e64 v19, 0, 1, s[48:49]
	v_cmp_lt_u32_e32 vcc, v69, v2
	v_lshlrev_b32_e32 v19, 1, v19
	v_cndmask_b32_e32 v7, v4, v7, vcc
	v_add_lshl_u32 v71, v19, v18, 2
	v_cndmask_b32_e32 v3, v5, v3, vcc
	ds_bpermute_b32 v19, v71, v7
	ds_bpermute_b32 v73, v71, v3
	v_cndmask_b32_e32 v74, v4, v72, vcc
	v_add_u32_e32 v72, 2, v69
	v_cmp_gt_u32_e64 s[50:51], 60, v69
	s_waitcnt lgkmcnt(1)
	v_add_co_u32_e64 v19, s[48:49], v19, v74
	s_waitcnt lgkmcnt(0)
	v_addc_co_u32_e64 v73, s[48:49], v73, v3, s[48:49]
	v_cmp_gt_u32_e64 s[48:49], v72, v2
	v_cndmask_b32_e64 v3, v73, v3, s[48:49]
	v_cndmask_b32_e64 v73, 0, 1, s[50:51]
	v_lshlrev_b32_e32 v73, 2, v73
	v_cndmask_b32_e64 v7, v19, v7, s[48:49]
	v_add_lshl_u32 v73, v73, v18, 2
	ds_bpermute_b32 v75, v73, v7
	ds_bpermute_b32 v76, v73, v3
	v_cndmask_b32_e64 v19, v19, v74, s[48:49]
	v_add_u32_e32 v74, 4, v69
	v_cmp_gt_u32_e64 s[50:51], 56, v69
	s_waitcnt lgkmcnt(1)
	v_add_co_u32_e64 v77, s[48:49], v75, v19
	s_waitcnt lgkmcnt(0)
	v_addc_co_u32_e64 v75, s[48:49], v76, v3, s[48:49]
	v_cmp_gt_u32_e64 s[48:49], v74, v2
	v_cndmask_b32_e64 v3, v75, v3, s[48:49]
	v_cndmask_b32_e64 v75, 0, 1, s[50:51]
	v_lshlrev_b32_e32 v75, 3, v75
	v_cndmask_b32_e64 v7, v77, v7, s[48:49]
	v_add_lshl_u32 v75, v75, v18, 2
	ds_bpermute_b32 v78, v75, v7
	v_cndmask_b32_e64 v19, v77, v19, s[48:49]
	ds_bpermute_b32 v77, v75, v3
	v_add_u32_e32 v76, 8, v69
	v_cmp_gt_u32_e64 s[50:51], 48, v69
	s_waitcnt lgkmcnt(1)
	v_add_co_u32_e64 v78, s[48:49], v78, v19
	s_waitcnt lgkmcnt(0)
	v_addc_co_u32_e64 v77, s[48:49], v77, v3, s[48:49]
	v_cmp_gt_u32_e64 s[48:49], v76, v2
	v_cndmask_b32_e64 v3, v77, v3, s[48:49]
	v_cndmask_b32_e64 v77, 0, 1, s[50:51]
	v_lshlrev_b32_e32 v77, 4, v77
	v_cndmask_b32_e64 v7, v78, v7, s[48:49]
	v_add_lshl_u32 v77, v77, v18, 2
	ds_bpermute_b32 v79, v77, v7
	ds_bpermute_b32 v80, v77, v3
	v_cndmask_b32_e64 v19, v78, v19, s[48:49]
	v_cmp_gt_u32_e64 s[50:51], 32, v69
	v_add_u32_e32 v78, 16, v69
	s_waitcnt lgkmcnt(1)
	v_add_co_u32_e64 v81, s[48:49], v79, v19
	s_waitcnt lgkmcnt(0)
	v_addc_co_u32_e64 v80, s[48:49], v80, v3, s[48:49]
	v_cndmask_b32_e64 v79, 0, 1, s[50:51]
	v_cmp_gt_u32_e64 s[48:49], v78, v2
	v_lshlrev_b32_e32 v79, 5, v79
	v_cndmask_b32_e64 v7, v81, v7, s[48:49]
	v_add_lshl_u32 v79, v79, v18, 2
	v_cndmask_b32_e64 v3, v80, v3, s[48:49]
	ds_bpermute_b32 v7, v79, v7
	ds_bpermute_b32 v18, v79, v3
	v_add_u32_e32 v80, 32, v69
	v_cndmask_b32_e64 v19, v81, v19, s[48:49]
	v_cmp_le_u32_e64 s[48:49], v80, v2
	s_waitcnt lgkmcnt(1)
	v_cndmask_b32_e64 v7, 0, v7, s[48:49]
	s_waitcnt lgkmcnt(0)
	v_cndmask_b32_e64 v2, 0, v18, s[48:49]
	v_add_co_u32_e64 v7, s[48:49], v7, v19
	v_addc_co_u32_e64 v2, s[48:49], v2, v3, s[48:49]
	v_mov_b32_e32 v13, 0
	v_cndmask_b32_e32 v5, v5, v2, vcc
	v_cndmask_b32_e32 v4, v4, v7, vcc
	s_branch .LBB21_149
.LBB21_148:                             ;   in Loop: Header=BB21_149 Depth=1
	s_or_b64 exec, exec, s[48:49]
	v_cmp_eq_u16_sdwa s[48:49], v6, v68 src0_sel:BYTE_0 src1_sel:DWORD
	v_and_b32_e32 v7, s49, v15
	v_or_b32_e32 v7, 0x80000000, v7
	ds_bpermute_b32 v19, v70, v4
	v_and_b32_e32 v18, s48, v14
	v_ffbl_b32_e32 v7, v7
	v_add_u32_e32 v7, 32, v7
	v_ffbl_b32_e32 v18, v18
	v_min_u32_e32 v7, v18, v7
	ds_bpermute_b32 v18, v70, v5
	s_waitcnt lgkmcnt(1)
	v_add_co_u32_e32 v19, vcc, v4, v19
	v_addc_co_u32_e32 v81, vcc, 0, v5, vcc
	v_add_co_u32_e32 v82, vcc, 0, v19
	s_waitcnt lgkmcnt(0)
	v_addc_co_u32_e32 v18, vcc, v18, v81, vcc
	v_cmp_lt_u32_e32 vcc, v69, v7
	v_cndmask_b32_e32 v19, v4, v19, vcc
	ds_bpermute_b32 v81, v71, v19
	v_cndmask_b32_e32 v18, v5, v18, vcc
	ds_bpermute_b32 v83, v71, v18
	v_cndmask_b32_e32 v82, v4, v82, vcc
	v_subrev_u32_e32 v12, 64, v12
	s_waitcnt lgkmcnt(1)
	v_add_co_u32_e64 v81, s[48:49], v81, v82
	s_waitcnt lgkmcnt(0)
	v_addc_co_u32_e64 v83, s[48:49], v83, v18, s[48:49]
	v_cmp_gt_u32_e64 s[48:49], v72, v7
	v_cndmask_b32_e64 v19, v81, v19, s[48:49]
	ds_bpermute_b32 v84, v73, v19
	v_cndmask_b32_e64 v18, v83, v18, s[48:49]
	ds_bpermute_b32 v83, v73, v18
	v_cndmask_b32_e64 v81, v81, v82, s[48:49]
	s_waitcnt lgkmcnt(1)
	v_add_co_u32_e64 v82, s[48:49], v84, v81
	s_waitcnt lgkmcnt(0)
	v_addc_co_u32_e64 v83, s[48:49], v83, v18, s[48:49]
	v_cmp_gt_u32_e64 s[48:49], v74, v7
	v_cndmask_b32_e64 v19, v82, v19, s[48:49]
	ds_bpermute_b32 v84, v75, v19
	v_cndmask_b32_e64 v18, v83, v18, s[48:49]
	ds_bpermute_b32 v83, v75, v18
	v_cndmask_b32_e64 v81, v82, v81, s[48:49]
	;; [unrolled: 10-line block ×3, first 2 shown]
	s_waitcnt lgkmcnt(1)
	v_add_co_u32_e64 v82, s[48:49], v84, v81
	s_waitcnt lgkmcnt(0)
	v_addc_co_u32_e64 v83, s[48:49], v83, v18, s[48:49]
	v_cmp_gt_u32_e64 s[48:49], v78, v7
	v_cndmask_b32_e64 v19, v82, v19, s[48:49]
	v_cndmask_b32_e64 v18, v83, v18, s[48:49]
	ds_bpermute_b32 v19, v79, v19
	ds_bpermute_b32 v83, v79, v18
	v_cndmask_b32_e64 v81, v82, v81, s[48:49]
	v_cmp_le_u32_e64 s[48:49], v80, v7
	s_waitcnt lgkmcnt(1)
	v_cndmask_b32_e64 v19, 0, v19, s[48:49]
	s_waitcnt lgkmcnt(0)
	v_cndmask_b32_e64 v7, 0, v83, s[48:49]
	v_add_co_u32_e64 v19, s[48:49], v19, v81
	v_addc_co_u32_e64 v7, s[48:49], v7, v18, s[48:49]
	v_cndmask_b32_e32 v4, v4, v19, vcc
	v_cndmask_b32_e32 v5, v5, v7, vcc
	v_add_co_u32_e32 v4, vcc, v4, v2
	v_addc_co_u32_e32 v5, vcc, v5, v3, vcc
.LBB21_149:                             ; =>This Loop Header: Depth=1
                                        ;     Child Loop BB21_152 Depth 2
	v_cmp_ne_u16_sdwa s[48:49], v6, v68 src0_sel:BYTE_0 src1_sel:DWORD
	v_cndmask_b32_e64 v2, 0, 1, s[48:49]
	;;#ASMSTART
	;;#ASMEND
	v_cmp_ne_u32_e32 vcc, 0, v2
	s_cmp_lg_u64 vcc, exec
	v_pk_mov_b32 v[2:3], v[4:5], v[4:5] op_sel:[0,1]
	s_cbranch_scc1 .LBB21_154
; %bb.150:                              ;   in Loop: Header=BB21_149 Depth=1
	v_lshlrev_b64 v[4:5], 4, v[12:13]
	v_mov_b32_e32 v6, s57
	v_add_co_u32_e32 v18, vcc, s56, v4
	v_addc_co_u32_e32 v19, vcc, v6, v5, vcc
	;;#ASMSTART
	global_load_dwordx4 v[4:7], v[18:19] off glc	
s_waitcnt vmcnt(0)
	;;#ASMEND
	v_and_b32_e32 v7, 0xff, v5
	v_and_b32_e32 v81, 0xff00, v5
	;; [unrolled: 1-line block ×3, first 2 shown]
	v_or3_b32 v7, 0, v7, v81
	v_or3_b32 v4, v4, 0, 0
	v_and_b32_e32 v5, 0xff000000, v5
	v_or3_b32 v5, v7, v82, v5
	v_or3_b32 v4, v4, 0, 0
	v_cmp_eq_u16_sdwa s[50:51], v6, v13 src0_sel:BYTE_0 src1_sel:DWORD
	s_and_saveexec_b64 s[48:49], s[50:51]
	s_cbranch_execz .LBB21_148
; %bb.151:                              ;   in Loop: Header=BB21_149 Depth=1
	s_mov_b64 s[50:51], 0
.LBB21_152:                             ;   Parent Loop BB21_149 Depth=1
                                        ; =>  This Inner Loop Header: Depth=2
	;;#ASMSTART
	global_load_dwordx4 v[4:7], v[18:19] off glc	
s_waitcnt vmcnt(0)
	;;#ASMEND
	v_cmp_ne_u16_sdwa s[62:63], v6, v13 src0_sel:BYTE_0 src1_sel:DWORD
	s_or_b64 s[50:51], s[62:63], s[50:51]
	s_andn2_b64 exec, exec, s[50:51]
	s_cbranch_execnz .LBB21_152
; %bb.153:                              ;   in Loop: Header=BB21_149 Depth=1
	s_or_b64 exec, exec, s[50:51]
	s_branch .LBB21_148
.LBB21_154:                             ;   in Loop: Header=BB21_149 Depth=1
                                        ; implicit-def: $vgpr4_vgpr5
                                        ; implicit-def: $vgpr6
	s_cbranch_execz .LBB21_149
; %bb.155:
	s_and_saveexec_b64 s[48:49], s[46:47]
	s_cbranch_execz .LBB21_157
; %bb.156:
	s_add_i32 s50, s58, 64
	s_mov_b32 s51, 0
	s_lshl_b64 s[50:51], s[50:51], 4
	s_add_u32 s50, s56, s50
	v_add_co_u32_e32 v4, vcc, v2, v0
	s_addc_u32 s51, s57, s51
	v_addc_co_u32_e32 v5, vcc, v3, v1, vcc
	v_mov_b32_e32 v6, 2
	v_mov_b32_e32 v7, 0
	v_pk_mov_b32 v[12:13], s[50:51], s[50:51] op_sel:[0,1]
	;;#ASMSTART
	global_store_dwordx4 v[12:13], v[4:7] off	
s_waitcnt vmcnt(0)
	;;#ASMEND
	ds_write_b128 v7, v[0:3] offset:18464
.LBB21_157:
	s_or_b64 exec, exec, s[48:49]
	s_and_b64 exec, exec, s[0:1]
	s_cbranch_execz .LBB21_159
; %bb.158:
	v_mov_b32_e32 v0, 0
	ds_write_b64 v0, v[2:3] offset:18456
.LBB21_159:
	s_or_b64 exec, exec, s[60:61]
	v_mov_b32_e32 v0, 0
	s_waitcnt lgkmcnt(0)
	v_cndmask_b32_e64 v1, v11, v10, s[46:47]
	s_barrier
	ds_read_b64 v[2:3], v0 offset:18456
	s_waitcnt lgkmcnt(0)
	v_cndmask_b32_e64 v3, v1, 0, s[0:1]
	s_barrier
	ds_read_b64 v[0:1], v0 offset:18472
	v_add_co_u32_e32 v4, vcc, v2, v3
	s_movk_i32 s33, 0x4820
	s_branch .LBB21_170
.LBB21_160:
                                        ; implicit-def: $vgpr0_vgpr1
                                        ; implicit-def: $sgpr33
                                        ; implicit-def: $vgpr4_vgpr5
	s_cbranch_execz .LBB21_170
; %bb.161:
	v_mov_b32_dpp v2, v8 row_shr:1 row_mask:0xf bank_mask:0xf
	s_waitcnt lgkmcnt(0)
	v_mov_b32_e32 v0, 0
	v_mbcnt_lo_u32_b32 v1, -1, 0
	v_add_co_u32_e32 v2, vcc, v2, v8
	v_mbcnt_hi_u32_b32 v4, -1, v1
	v_mov_b32_dpp v0, v0 row_shr:1 row_mask:0xf bank_mask:0xf
	v_addc_co_u32_e64 v3, s[46:47], 0, 0, vcc
	v_add_co_u32_e32 v5, vcc, 0, v2
	v_and_b32_e32 v1, 15, v4
	v_addc_co_u32_e32 v0, vcc, v0, v3, vcc
	v_cmp_eq_u32_e32 vcc, 0, v1
	v_cndmask_b32_e32 v2, v2, v8, vcc
	v_cndmask_b32_e64 v0, v0, 0, vcc
	v_cndmask_b32_e32 v3, v5, v8, vcc
	v_mov_b32_dpp v5, v2 row_shr:2 row_mask:0xf bank_mask:0xf
	v_mov_b32_dpp v6, v0 row_shr:2 row_mask:0xf bank_mask:0xf
	v_add_co_u32_e32 v5, vcc, v5, v3
	v_addc_co_u32_e32 v6, vcc, v6, v0, vcc
	v_cmp_lt_u32_e32 vcc, 1, v1
	v_cndmask_b32_e32 v2, v2, v5, vcc
	v_cndmask_b32_e32 v0, v0, v6, vcc
	v_cndmask_b32_e32 v3, v3, v5, vcc
	v_mov_b32_dpp v5, v2 row_shr:4 row_mask:0xf bank_mask:0xf
	v_mov_b32_dpp v6, v0 row_shr:4 row_mask:0xf bank_mask:0xf
	v_add_co_u32_e32 v5, vcc, v5, v3
	v_addc_co_u32_e32 v6, vcc, v6, v0, vcc
	v_cmp_lt_u32_e32 vcc, 3, v1
	v_cndmask_b32_e32 v2, v2, v5, vcc
	v_cndmask_b32_e32 v0, v0, v6, vcc
	;; [unrolled: 8-line block ×3, first 2 shown]
	v_cndmask_b32_e32 v0, v3, v5, vcc
	v_mov_b32_dpp v3, v1 row_bcast:15 row_mask:0xf bank_mask:0xf
	v_mov_b32_dpp v2, v6 row_bcast:15 row_mask:0xf bank_mask:0xf
	v_and_b32_e32 v7, 16, v4
	v_add_co_u32_e32 v2, vcc, v2, v0
	v_addc_co_u32_e32 v5, vcc, v3, v1, vcc
	v_cmp_eq_u32_e64 s[46:47], 0, v7
	v_cndmask_b32_e64 v7, v5, v1, s[46:47]
	v_cndmask_b32_e64 v3, v2, v6, s[46:47]
	v_cmp_eq_u32_e32 vcc, 0, v4
	v_mov_b32_dpp v6, v7 row_bcast:31 row_mask:0xf bank_mask:0xf
	v_mov_b32_dpp v3, v3 row_bcast:31 row_mask:0xf bank_mask:0xf
	v_cmp_ne_u32_e64 s[48:49], 0, v4
	s_and_saveexec_b64 s[50:51], s[48:49]
; %bb.162:
	v_cndmask_b32_e64 v1, v5, v1, s[46:47]
	v_cndmask_b32_e64 v0, v2, v0, s[46:47]
	v_cmp_lt_u32_e64 s[46:47], 31, v4
	v_cndmask_b32_e64 v3, 0, v3, s[46:47]
	v_cndmask_b32_e64 v2, 0, v6, s[46:47]
	v_add_co_u32_e64 v8, s[46:47], v3, v0
	v_addc_co_u32_e64 v9, s[46:47], v2, v1, s[46:47]
; %bb.163:
	s_or_b64 exec, exec, s[50:51]
	v_and_b32_e32 v1, 0x3c0, v16
	v_min_u32_e32 v1, 0xc0, v1
	v_lshrrev_b32_e32 v0, 6, v16
	v_or_b32_e32 v1, 63, v1
	v_cmp_eq_u32_e64 s[46:47], v1, v16
	v_lshlrev_b32_e32 v5, 3, v0
	s_and_saveexec_b64 s[48:49], s[46:47]
	s_cbranch_execz .LBB21_165
; %bb.164:
	ds_write_b64 v5, v[8:9] offset:18432
.LBB21_165:
	s_or_b64 exec, exec, s[48:49]
	v_cmp_gt_u32_e64 s[46:47], 4, v16
	s_waitcnt lgkmcnt(0)
	s_barrier
	s_and_saveexec_b64 s[50:51], s[46:47]
	s_cbranch_execz .LBB21_167
; %bb.166:
	v_lshlrev_b32_e32 v2, 3, v16
	ds_read_b64 v[0:1], v2 offset:18432
	v_and_b32_e32 v3, 3, v4
	v_cmp_ne_u32_e64 s[48:49], 1, v3
	s_waitcnt lgkmcnt(0)
	v_mov_b32_dpp v6, v0 row_shr:1 row_mask:0xf bank_mask:0xf
	v_add_co_u32_e64 v6, s[46:47], v0, v6
	v_addc_co_u32_e64 v9, s[46:47], 0, v1, s[46:47]
	v_mov_b32_dpp v7, v1 row_shr:1 row_mask:0xf bank_mask:0xf
	v_add_co_u32_e64 v10, s[46:47], 0, v6
	v_addc_co_u32_e64 v7, s[46:47], v7, v9, s[46:47]
	v_cmp_eq_u32_e64 s[46:47], 0, v3
	v_cndmask_b32_e64 v6, v6, v0, s[46:47]
	v_cndmask_b32_e64 v9, v7, v1, s[46:47]
	s_nop 0
	v_mov_b32_dpp v6, v6 row_shr:2 row_mask:0xf bank_mask:0xf
	v_mov_b32_dpp v9, v9 row_shr:2 row_mask:0xf bank_mask:0xf
	v_cndmask_b32_e64 v3, 0, v6, s[48:49]
	v_cndmask_b32_e64 v6, 0, v9, s[48:49]
	v_add_co_u32_e64 v3, s[48:49], v3, v10
	v_addc_co_u32_e64 v6, s[48:49], v6, v7, s[48:49]
	v_cndmask_b32_e64 v1, v6, v1, s[46:47]
	v_cndmask_b32_e64 v0, v3, v0, s[46:47]
	ds_write_b64 v2, v[0:1] offset:18432
.LBB21_167:
	s_or_b64 exec, exec, s[50:51]
	v_pk_mov_b32 v[0:1], 0, 0
	v_cmp_lt_u32_e64 s[46:47], 63, v16
	v_pk_mov_b32 v[2:3], v[0:1], v[0:1] op_sel:[0,1]
	s_waitcnt lgkmcnt(0)
	s_barrier
	s_and_saveexec_b64 s[48:49], s[46:47]
	s_cbranch_execz .LBB21_169
; %bb.168:
	ds_read_b64 v[2:3], v5 offset:18424
.LBB21_169:
	s_or_b64 exec, exec, s[48:49]
	v_add_u32_e32 v5, -1, v4
	v_and_b32_e32 v6, 64, v4
	v_cmp_lt_i32_e64 s[46:47], v5, v6
	v_cndmask_b32_e64 v4, v5, v4, s[46:47]
	s_waitcnt lgkmcnt(0)
	v_add_u32_e32 v3, v2, v8
	v_lshlrev_b32_e32 v4, 2, v4
	ds_bpermute_b32 v3, v4, v3
	s_movk_i32 s33, 0x4818
	s_waitcnt lgkmcnt(0)
	v_cndmask_b32_e32 v4, v3, v2, vcc
.LBB21_170:
	v_mov_b32_e32 v2, s33
	ds_read_b64 v[2:3], v2
	s_waitcnt lgkmcnt(1)
	v_sub_u32_e32 v4, v4, v0
	s_waitcnt lgkmcnt(0)
	s_barrier
	s_and_saveexec_b64 s[46:47], s[44:45]
	s_cbranch_execnz .LBB21_221
; %bb.171:
	s_or_b64 exec, exec, s[46:47]
	s_and_saveexec_b64 s[2:3], s[42:43]
	s_cbranch_execnz .LBB21_222
.LBB21_172:
	s_or_b64 exec, exec, s[2:3]
	s_and_saveexec_b64 s[2:3], s[40:41]
	s_cbranch_execnz .LBB21_223
.LBB21_173:
	s_or_b64 exec, exec, s[2:3]
	s_and_saveexec_b64 s[2:3], s[38:39]
	s_cbranch_execnz .LBB21_224
.LBB21_174:
	s_or_b64 exec, exec, s[2:3]
	s_and_saveexec_b64 s[2:3], s[36:37]
	s_cbranch_execnz .LBB21_225
.LBB21_175:
	s_or_b64 exec, exec, s[2:3]
	s_and_saveexec_b64 s[2:3], s[34:35]
	s_cbranch_execz .LBB21_177
.LBB21_176:
	v_cndmask_b32_e64 v5, v38, v39, s[12:13]
	v_lshlrev_b32_e32 v6, 2, v4
	v_add_u32_e32 v4, 1, v4
	ds_write_b32 v6, v5 offset:19456
.LBB21_177:
	s_or_b64 exec, exec, s[2:3]
	v_and_b32_e32 v5, 64, v67
	v_cmp_ne_u32_e32 vcc, 0, v5
	s_and_saveexec_b64 s[2:3], vcc
	s_cbranch_execz .LBB21_179
; %bb.178:
	v_cndmask_b32_e64 v5, v40, v41, s[14:15]
	v_lshlrev_b32_e32 v6, 2, v4
	v_add_u32_e32 v4, 1, v4
	ds_write_b32 v6, v5 offset:19456
.LBB21_179:
	s_or_b64 exec, exec, s[2:3]
	v_and_b32_e32 v5, 0x80, v66
	v_cmp_ne_u32_e32 vcc, 0, v5
	s_and_saveexec_b64 s[2:3], vcc
	s_cbranch_execz .LBB21_181
; %bb.180:
	v_cndmask_b32_e64 v5, v42, v43, s[16:17]
	v_lshlrev_b32_e32 v6, 2, v4
	v_add_u32_e32 v4, 1, v4
	ds_write_b32 v6, v5 offset:19456
.LBB21_181:
	;; [unrolled: 11-line block ×9, first 2 shown]
	s_or_b64 exec, exec, s[2:3]
	v_and_b32_e32 v5, 0x8000, v62
	v_cmp_ne_u32_e32 vcc, 0, v5
	s_and_saveexec_b64 s[4:5], vcc
	s_cbranch_execz .LBB21_197
; %bb.196:
	v_cmp_lt_i32_e32 vcc, v60, v58
	v_cmp_lt_i32_e64 s[2:3], v61, v27
	v_cmp_ge_i32_sdwa s[6:7], v59, sext(v17) src0_sel:DWORD src1_sel:WORD_1
	s_and_b64 s[2:3], s[2:3], vcc
	s_or_b64 vcc, s[6:7], s[2:3]
	v_cndmask_b32_e32 v5, v58, v60, vcc
	v_lshlrev_b32_e32 v4, 2, v4
	ds_write_b32 v4, v5 offset:19456
.LBB21_197:
	s_or_b64 exec, exec, s[4:5]
	v_cmp_lt_i32_e32 vcc, v16, v2
	s_waitcnt lgkmcnt(0)
	s_barrier
	s_and_saveexec_b64 s[4:5], vcc
	s_cbranch_execz .LBB21_205
; %bb.198:
	v_xad_u32 v7, v16, -1, v2
	s_movk_i32 s2, 0xff
	v_cmp_lt_u32_e32 vcc, s2, v7
	s_mov_b64 s[2:3], -1
	v_lshlrev_b64 v[4:5], 2, v[0:1]
	v_mov_b32_e32 v6, v16
	s_and_saveexec_b64 s[6:7], vcc
	s_cbranch_execz .LBB21_202
; %bb.199:
	v_lshrrev_b32_e32 v6, 8, v7
	v_add_u32_e32 v10, 1, v6
	v_mov_b32_e32 v6, s53
	v_add_co_u32_e32 v12, vcc, s52, v4
	v_and_b32_e32 v11, 0x1fffffe, v10
	v_add_u32_e32 v17, 0x100, v16
	v_addc_co_u32_e32 v13, vcc, v6, v5, vcc
	s_mov_b64 s[8:9], 0
	v_mov_b32_e32 v7, 0
	v_mov_b32_e32 v14, v11
	v_pk_mov_b32 v[8:9], v[16:17], v[16:17] op_sel:[0,1]
.LBB21_200:                             ; =>This Inner Loop Header: Depth=1
	ds_read2st64_b32 v[18:19], v26 offset1:4
	v_mov_b32_e32 v6, v8
	v_add_u32_e32 v14, -2, v14
	v_lshlrev_b64 v[28:29], 2, v[6:7]
	v_mov_b32_e32 v6, v9
	v_cmp_eq_u32_e32 vcc, 0, v14
	v_add_co_u32_e64 v28, s[2:3], v12, v28
	v_lshlrev_b64 v[30:31], 2, v[6:7]
	v_add_u32_e32 v8, 0x200, v8
	v_add_u32_e32 v26, 0x800, v26
	;; [unrolled: 1-line block ×3, first 2 shown]
	v_addc_co_u32_e64 v29, s[2:3], v13, v29, s[2:3]
	s_or_b64 s[8:9], vcc, s[8:9]
	v_add_co_u32_e32 v30, vcc, v12, v30
	v_addc_co_u32_e32 v31, vcc, v13, v31, vcc
	s_waitcnt lgkmcnt(0)
	global_store_dword v[28:29], v18, off
	global_store_dword v[30:31], v19, off
	s_andn2_b64 exec, exec, s[8:9]
	s_cbranch_execnz .LBB21_200
; %bb.201:
	s_or_b64 exec, exec, s[8:9]
	v_cmp_ne_u32_e32 vcc, v10, v11
	v_lshl_add_u32 v6, v11, 8, v16
	s_orn2_b64 s[2:3], vcc, exec
.LBB21_202:
	s_or_b64 exec, exec, s[6:7]
	s_and_b64 exec, exec, s[2:3]
	s_cbranch_execz .LBB21_205
; %bb.203:
	v_mov_b32_e32 v7, 0x4c00
	v_lshl_add_u32 v8, v6, 2, v7
	v_mov_b32_e32 v7, 0
	v_lshlrev_b64 v[10:11], 2, v[6:7]
	v_mov_b32_e32 v7, s53
	v_add_co_u32_e32 v4, vcc, s52, v4
	v_addc_co_u32_e32 v5, vcc, v7, v5, vcc
	v_add_co_u32_e32 v4, vcc, v4, v10
	v_addc_co_u32_e32 v5, vcc, v5, v11, vcc
	s_mov_b64 s[2:3], 0
.LBB21_204:                             ; =>This Inner Loop Header: Depth=1
	ds_read_b32 v7, v8
	v_add_u32_e32 v6, 0x100, v6
	v_cmp_ge_i32_e32 vcc, v6, v2
	s_or_b64 s[2:3], vcc, s[2:3]
	v_add_u32_e32 v8, 0x400, v8
	s_waitcnt lgkmcnt(0)
	global_store_dword v[4:5], v7, off
	v_add_co_u32_e32 v4, vcc, 0x400, v4
	v_addc_co_u32_e32 v5, vcc, 0, v5, vcc
	s_andn2_b64 exec, exec, s[2:3]
	s_cbranch_execnz .LBB21_204
.LBB21_205:
	s_or_b64 exec, exec, s[4:5]
	s_and_saveexec_b64 s[2:3], s[0:1]
	s_cbranch_execz .LBB21_207
; %bb.206:
	v_add_co_u32_e32 v0, vcc, v2, v0
	v_mov_b32_e32 v4, 0
	v_addc_co_u32_e32 v1, vcc, v3, v1, vcc
	global_store_dwordx2 v4, v[0:1], s[54:55]
.LBB21_207:
	s_or_b64 exec, exec, s[2:3]
	s_mov_b64 s[0:1], 0
.LBB21_208:
	s_and_b64 vcc, exec, s[0:1]
	s_cbranch_vccz .LBB21_388
; %bb.209:
	v_lshlrev_b32_e32 v2, 2, v16
	v_sub_u32_e32 v4, v16, v20
	v_add_co_u32_e32 v3, vcc, v24, v2
	v_ashrrev_i32_e32 v5, 31, v4
	v_addc_co_u32_e32 v1, vcc, 0, v25, vcc
	v_lshlrev_b64 v[4:5], 2, v[4:5]
	v_add_co_u32_e32 v0, vcc, v22, v4
	v_addc_co_u32_e32 v4, vcc, v23, v5, vcc
	v_cmp_lt_i32_e32 vcc, v16, v20
	v_cndmask_b32_e32 v5, v4, v1, vcc
	v_cndmask_b32_e32 v4, v0, v3, vcc
	global_load_dword v0, v[4:5], off
	v_ashrrev_i32_e32 v5, 31, v20
	v_sub_co_u32_e32 v4, vcc, v16, v20
	v_subb_co_u32_e32 v5, vcc, 0, v5, vcc
	v_lshlrev_b64 v[4:5], 2, v[4:5]
	v_add_co_u32_e32 v8, vcc, v22, v4
	v_add_u32_e32 v6, 0x100, v16
	v_addc_co_u32_e32 v9, vcc, v23, v5, vcc
	v_cmp_lt_i32_e32 vcc, v6, v20
	v_cndmask_b32_e32 v5, v9, v1, vcc
	v_cndmask_b32_e32 v4, v8, v3, vcc
	global_load_dword v4, v[4:5], off offset:1024
	v_add_u32_e32 v5, 0x200, v16
	v_cmp_lt_i32_e32 vcc, v5, v20
	v_cndmask_b32_e32 v7, v9, v1, vcc
	v_cndmask_b32_e32 v6, v8, v3, vcc
	global_load_dword v5, v[6:7], off offset:2048
	v_add_u32_e32 v6, 0x300, v16
	v_cmp_lt_i32_e32 vcc, v6, v20
	v_cndmask_b32_e32 v7, v9, v1, vcc
	v_cndmask_b32_e32 v6, v8, v3, vcc
	global_load_dword v6, v[6:7], off offset:3072
	v_or_b32_e32 v7, 0x400, v16
	v_lshlrev_b32_e32 v8, 2, v7
	v_add_co_u32_e32 v10, vcc, v24, v8
	v_sub_u32_e32 v8, v7, v20
	v_ashrrev_i32_e32 v9, 31, v8
	v_addc_co_u32_e32 v11, vcc, 0, v25, vcc
	v_lshlrev_b64 v[8:9], 2, v[8:9]
	v_add_co_u32_e32 v8, vcc, v22, v8
	v_addc_co_u32_e32 v9, vcc, v23, v9, vcc
	v_cmp_lt_i32_e32 vcc, v7, v20
	v_cndmask_b32_e32 v9, v9, v11, vcc
	v_cndmask_b32_e32 v8, v8, v10, vcc
	v_add_u32_e32 v10, 0x500, v16
	global_load_dword v7, v[8:9], off
	s_movk_i32 s0, 0x1400
	v_sub_u32_e32 v8, v10, v20
	v_add_co_u32_e32 v11, vcc, s0, v3
	v_ashrrev_i32_e32 v9, 31, v8
	v_addc_co_u32_e32 v12, vcc, 0, v1, vcc
	v_lshlrev_b64 v[8:9], 2, v[8:9]
	v_add_co_u32_e32 v8, vcc, v22, v8
	v_addc_co_u32_e32 v9, vcc, v23, v9, vcc
	v_cmp_lt_i32_e32 vcc, v10, v20
	v_cndmask_b32_e32 v9, v9, v12, vcc
	v_cndmask_b32_e32 v8, v8, v11, vcc
	global_load_dword v8, v[8:9], off
	v_add_u32_e32 v9, 0x600, v16
	s_movk_i32 s0, 0x1800
	v_sub_u32_e32 v10, v9, v20
	v_add_co_u32_e32 v12, vcc, s0, v3
	v_ashrrev_i32_e32 v11, 31, v10
	v_addc_co_u32_e32 v13, vcc, 0, v1, vcc
	v_lshlrev_b64 v[10:11], 2, v[10:11]
	v_add_co_u32_e32 v10, vcc, v22, v10
	v_addc_co_u32_e32 v11, vcc, v23, v11, vcc
	v_cmp_lt_i32_e32 vcc, v9, v20
	v_cndmask_b32_e32 v11, v11, v13, vcc
	v_cndmask_b32_e32 v10, v10, v12, vcc
	v_add_u32_e32 v12, 0x700, v16
	global_load_dword v9, v[10:11], off
	s_movk_i32 s0, 0x1c00
	v_sub_u32_e32 v10, v12, v20
	v_add_co_u32_e32 v13, vcc, s0, v3
	v_ashrrev_i32_e32 v11, 31, v10
	v_addc_co_u32_e32 v14, vcc, 0, v1, vcc
	v_lshlrev_b64 v[10:11], 2, v[10:11]
	v_add_co_u32_e32 v10, vcc, v22, v10
	v_addc_co_u32_e32 v11, vcc, v23, v11, vcc
	v_cmp_lt_i32_e32 vcc, v12, v20
	v_cndmask_b32_e32 v11, v11, v14, vcc
	v_cndmask_b32_e32 v10, v10, v13, vcc
	global_load_dword v10, v[10:11], off
	v_or_b32_e32 v11, 0x800, v16
	v_lshlrev_b32_e32 v12, 2, v11
	v_add_co_u32_e32 v14, vcc, v24, v12
	v_sub_u32_e32 v12, v11, v20
	v_ashrrev_i32_e32 v13, 31, v12
	v_addc_co_u32_e32 v15, vcc, 0, v25, vcc
	v_lshlrev_b64 v[12:13], 2, v[12:13]
	v_add_co_u32_e32 v12, vcc, v22, v12
	v_addc_co_u32_e32 v13, vcc, v23, v13, vcc
	v_cmp_lt_i32_e32 vcc, v11, v20
	v_cndmask_b32_e32 v13, v13, v15, vcc
	v_cndmask_b32_e32 v12, v12, v14, vcc
	v_add_u32_e32 v14, 0x900, v16
	global_load_dword v11, v[12:13], off
	s_movk_i32 s0, 0x2400
	v_sub_u32_e32 v12, v14, v20
	v_add_co_u32_e32 v15, vcc, s0, v3
	v_ashrrev_i32_e32 v13, 31, v12
	v_addc_co_u32_e32 v17, vcc, 0, v1, vcc
	v_lshlrev_b64 v[12:13], 2, v[12:13]
	v_add_co_u32_e32 v12, vcc, v22, v12
	v_addc_co_u32_e32 v13, vcc, v23, v13, vcc
	v_cmp_lt_i32_e32 vcc, v14, v20
	v_cndmask_b32_e32 v13, v13, v17, vcc
	v_cndmask_b32_e32 v12, v12, v15, vcc
	global_load_dword v12, v[12:13], off
	v_add_u32_e32 v13, 0xa00, v16
	s_movk_i32 s0, 0x2800
	v_sub_u32_e32 v14, v13, v20
	v_add_co_u32_e32 v17, vcc, s0, v3
	v_ashrrev_i32_e32 v15, 31, v14
	v_addc_co_u32_e32 v18, vcc, 0, v1, vcc
	v_lshlrev_b64 v[14:15], 2, v[14:15]
	v_add_co_u32_e32 v14, vcc, v22, v14
	v_addc_co_u32_e32 v15, vcc, v23, v15, vcc
	v_cmp_lt_i32_e32 vcc, v13, v20
	v_cndmask_b32_e32 v15, v15, v18, vcc
	v_cndmask_b32_e32 v14, v14, v17, vcc
	v_add_u32_e32 v17, 0xb00, v16
	global_load_dword v13, v[14:15], off
	s_movk_i32 s0, 0x2c00
	v_sub_u32_e32 v14, v17, v20
	v_add_co_u32_e32 v18, vcc, s0, v3
	v_ashrrev_i32_e32 v15, 31, v14
	v_addc_co_u32_e32 v19, vcc, 0, v1, vcc
	v_lshlrev_b64 v[14:15], 2, v[14:15]
	v_add_co_u32_e32 v14, vcc, v22, v14
	v_addc_co_u32_e32 v15, vcc, v23, v15, vcc
	v_cmp_lt_i32_e32 vcc, v17, v20
	v_cndmask_b32_e32 v15, v15, v19, vcc
	v_cndmask_b32_e32 v14, v14, v18, vcc
	global_load_dword v14, v[14:15], off
	v_or_b32_e32 v15, 0xc00, v16
	v_lshlrev_b32_e32 v17, 2, v15
	v_sub_u32_e32 v18, v15, v20
	v_add_co_u32_e32 v17, vcc, v24, v17
	v_ashrrev_i32_e32 v19, 31, v18
	v_addc_co_u32_e32 v24, vcc, 0, v25, vcc
	v_lshlrev_b64 v[18:19], 2, v[18:19]
	v_add_co_u32_e32 v18, vcc, v22, v18
	v_addc_co_u32_e32 v19, vcc, v23, v19, vcc
	v_cmp_lt_i32_e32 vcc, v15, v20
	v_cndmask_b32_e32 v19, v19, v24, vcc
	v_cndmask_b32_e32 v18, v18, v17, vcc
	v_add_u32_e32 v17, 0xd00, v16
	global_load_dword v15, v[18:19], off
	s_movk_i32 s0, 0x3400
	v_sub_u32_e32 v18, v17, v20
	v_add_co_u32_e32 v24, vcc, s0, v3
	v_ashrrev_i32_e32 v19, 31, v18
	v_addc_co_u32_e32 v25, vcc, 0, v1, vcc
	v_lshlrev_b64 v[18:19], 2, v[18:19]
	v_add_co_u32_e32 v18, vcc, v22, v18
	v_addc_co_u32_e32 v19, vcc, v23, v19, vcc
	v_cmp_lt_i32_e32 vcc, v17, v20
	v_add_u32_e32 v17, 0xe00, v16
	v_cndmask_b32_e32 v19, v19, v25, vcc
	v_cndmask_b32_e32 v18, v18, v24, vcc
	s_movk_i32 s0, 0x3800
	v_sub_u32_e32 v24, v17, v20
	global_load_dword v18, v[18:19], off
	v_add_co_u32_e32 v19, vcc, s0, v3
	v_ashrrev_i32_e32 v25, 31, v24
	v_addc_co_u32_e32 v26, vcc, 0, v1, vcc
	v_lshlrev_b64 v[24:25], 2, v[24:25]
	v_add_co_u32_e32 v24, vcc, v22, v24
	v_addc_co_u32_e32 v25, vcc, v23, v25, vcc
	v_cmp_lt_i32_e32 vcc, v17, v20
	v_cndmask_b32_e32 v25, v25, v26, vcc
	v_cndmask_b32_e32 v24, v24, v19, vcc
	global_load_dword v24, v[24:25], off
	v_add_u32_e32 v25, 0xf00, v16
	v_add_u32_e32 v19, v21, v20
	v_mov_b32_e32 v17, 0
	v_cmp_lt_i32_e32 vcc, v25, v19
                                        ; implicit-def: $vgpr26
	s_and_saveexec_b64 s[0:1], vcc
	s_cbranch_execz .LBB21_211
; %bb.210:
	v_sub_u32_e32 v26, v25, v20
	v_add_co_u32_e32 v3, vcc, 0x3c00, v3
	v_ashrrev_i32_e32 v27, 31, v26
	v_addc_co_u32_e32 v1, vcc, 0, v1, vcc
	v_lshlrev_b64 v[26:27], 2, v[26:27]
	v_add_co_u32_e32 v22, vcc, v22, v26
	v_addc_co_u32_e32 v23, vcc, v23, v27, vcc
	v_cmp_lt_i32_e32 vcc, v25, v20
	v_cndmask_b32_e32 v23, v23, v1, vcc
	v_cndmask_b32_e32 v22, v22, v3, vcc
	global_load_dword v26, v[22:23], off
.LBB21_211:
	s_or_b64 exec, exec, s[0:1]
	s_waitcnt vmcnt(13)
	ds_write2st64_b32 v2, v0, v4 offset0:4 offset1:8
	s_waitcnt vmcnt(11)
	ds_write2st64_b32 v2, v5, v6 offset0:12 offset1:16
	;; [unrolled: 2-line block ×8, first 2 shown]
	v_lshlrev_b32_e32 v0, 4, v16
	v_min_i32_e32 v1, v19, v0
	v_sub_u32_e32 v0, v1, v21
	v_max_i32_e32 v0, 0, v0
	v_min_i32_e32 v4, v20, v1
	v_lshlrev_b32_e32 v3, 2, v20
	v_cmp_lt_i32_e32 vcc, v0, v4
	s_waitcnt lgkmcnt(0)
	s_barrier
	s_and_saveexec_b64 s[0:1], vcc
	s_cbranch_execz .LBB21_215
; %bb.212:
	v_lshl_add_u32 v5, v1, 2, v3
	v_add_u32_e32 v5, 0x400, v5
	s_mov_b64 s[2:3], 0
.LBB21_213:                             ; =>This Inner Loop Header: Depth=1
	v_add_u32_e32 v6, v4, v0
	v_ashrrev_i32_e32 v6, 1, v6
	v_not_b32_e32 v8, v6
	v_lshlrev_b32_e32 v7, 2, v6
	v_lshl_add_u32 v8, v8, 2, v5
	ds_read_b32 v7, v7 offset:1024
	ds_read_b32 v8, v8
	v_add_u32_e32 v9, 1, v6
	s_waitcnt lgkmcnt(0)
	v_cmp_lt_i32_e32 vcc, v8, v7
	v_cndmask_b32_e32 v4, v4, v6, vcc
	v_cndmask_b32_e32 v0, v9, v0, vcc
	v_cmp_ge_i32_e32 vcc, v0, v4
	s_or_b64 s[2:3], vcc, s[2:3]
	s_andn2_b64 exec, exec, s[2:3]
	s_cbranch_execnz .LBB21_213
; %bb.214:
	s_or_b64 exec, exec, s[2:3]
.LBB21_215:
	s_or_b64 exec, exec, s[0:1]
	v_sub_u32_e32 v6, v1, v0
	v_add_u32_e32 v22, 0x400, v2
	v_cmp_lt_i32_e32 vcc, v6, v21
	v_mov_b32_e32 v5, 0
	s_and_saveexec_b64 s[2:3], vcc
	s_cbranch_execz .LBB21_250
; %bb.216:
	v_lshl_add_u32 v7, v6, 2, v3
	ds_read_b32 v5, v7 offset:1024
	v_cmp_lt_i32_e32 vcc, 0, v0
	v_mov_b32_e32 v4, 0
	v_mov_b32_e32 v8, v0
	s_and_saveexec_b64 s[0:1], vcc
	s_cbranch_execnz .LBB21_226
; %bb.217:
	s_or_b64 exec, exec, s[0:1]
	v_cmp_lt_i32_e32 vcc, v4, v8
	s_and_saveexec_b64 s[0:1], vcc
	s_cbranch_execnz .LBB21_227
.LBB21_218:
	s_or_b64 exec, exec, s[0:1]
	v_cmp_lt_i32_e32 vcc, v4, v8
	s_and_saveexec_b64 s[0:1], vcc
	s_cbranch_execnz .LBB21_228
.LBB21_219:
	s_or_b64 exec, exec, s[0:1]
	v_cmp_lt_i32_e32 vcc, v4, v8
	s_and_saveexec_b64 s[0:1], vcc
	s_cbranch_execnz .LBB21_229
.LBB21_220:
	s_or_b64 exec, exec, s[0:1]
	v_cmp_lt_i32_e32 vcc, v4, v8
	s_and_saveexec_b64 s[0:1], vcc
	s_cbranch_execnz .LBB21_230
	s_branch .LBB21_233
.LBB21_221:
	v_cndmask_b32_e64 v5, v28, v29, s[2:3]
	v_lshlrev_b32_e32 v6, 2, v4
	v_add_u32_e32 v4, 1, v4
	ds_write_b32 v6, v5 offset:19456
	s_or_b64 exec, exec, s[46:47]
	s_and_saveexec_b64 s[2:3], s[42:43]
	s_cbranch_execz .LBB21_172
.LBB21_222:
	v_cndmask_b32_e64 v5, v30, v31, s[4:5]
	v_lshlrev_b32_e32 v6, 2, v4
	v_add_u32_e32 v4, 1, v4
	ds_write_b32 v6, v5 offset:19456
	s_or_b64 exec, exec, s[2:3]
	s_and_saveexec_b64 s[2:3], s[40:41]
	s_cbranch_execz .LBB21_173
.LBB21_223:
	v_cndmask_b32_e64 v5, v32, v33, s[6:7]
	v_lshlrev_b32_e32 v6, 2, v4
	v_add_u32_e32 v4, 1, v4
	ds_write_b32 v6, v5 offset:19456
	s_or_b64 exec, exec, s[2:3]
	s_and_saveexec_b64 s[2:3], s[38:39]
	s_cbranch_execz .LBB21_174
.LBB21_224:
	v_cndmask_b32_e64 v5, v34, v35, s[8:9]
	v_lshlrev_b32_e32 v6, 2, v4
	v_add_u32_e32 v4, 1, v4
	ds_write_b32 v6, v5 offset:19456
	s_or_b64 exec, exec, s[2:3]
	s_and_saveexec_b64 s[2:3], s[36:37]
	s_cbranch_execz .LBB21_175
.LBB21_225:
	v_cndmask_b32_e64 v5, v36, v37, s[10:11]
	v_lshlrev_b32_e32 v6, 2, v4
	v_add_u32_e32 v4, 1, v4
	ds_write_b32 v6, v5 offset:19456
	s_or_b64 exec, exec, s[2:3]
	s_and_saveexec_b64 s[2:3], s[34:35]
	s_cbranch_execnz .LBB21_176
	s_branch .LBB21_177
.LBB21_226:
	s_movk_i32 s4, 0x1ff
	v_mul_lo_u32 v4, v0, s4
	v_ashrrev_i32_e32 v8, 9, v4
	v_lshlrev_b32_e32 v4, 2, v8
	ds_read_b32 v4, v4 offset:1024
	v_add_u32_e32 v9, 1, v8
	s_waitcnt lgkmcnt(0)
	v_cmp_lt_i32_e32 vcc, v4, v5
	v_cndmask_b32_e32 v4, 0, v9, vcc
	v_cndmask_b32_e32 v8, v8, v0, vcc
	s_or_b64 exec, exec, s[0:1]
	v_cmp_lt_i32_e32 vcc, v4, v8
	s_and_saveexec_b64 s[0:1], vcc
	s_cbranch_execz .LBB21_218
.LBB21_227:
	v_sub_u32_e32 v9, v4, v8
	v_lshl_add_u32 v9, v8, 7, v9
	v_ashrrev_i32_e32 v9, 7, v9
	v_lshlrev_b32_e32 v10, 2, v9
	ds_read_b32 v10, v10 offset:1024
	v_add_u32_e32 v11, 1, v9
	s_waitcnt lgkmcnt(0)
	v_cmp_lt_i32_e32 vcc, v10, v5
	v_cndmask_b32_e32 v4, v4, v11, vcc
	v_cndmask_b32_e32 v8, v9, v8, vcc
	s_or_b64 exec, exec, s[0:1]
	v_cmp_lt_i32_e32 vcc, v4, v8
	s_and_saveexec_b64 s[0:1], vcc
	s_cbranch_execz .LBB21_219
.LBB21_228:
	v_sub_u32_e32 v9, v4, v8
	v_lshl_add_u32 v9, v8, 5, v9
	v_ashrrev_i32_e32 v9, 5, v9
	v_lshlrev_b32_e32 v10, 2, v9
	ds_read_b32 v10, v10 offset:1024
	v_add_u32_e32 v11, 1, v9
	s_waitcnt lgkmcnt(0)
	v_cmp_lt_i32_e32 vcc, v10, v5
	v_cndmask_b32_e32 v4, v4, v11, vcc
	v_cndmask_b32_e32 v8, v9, v8, vcc
	s_or_b64 exec, exec, s[0:1]
	v_cmp_lt_i32_e32 vcc, v4, v8
	s_and_saveexec_b64 s[0:1], vcc
	s_cbranch_execz .LBB21_220
.LBB21_229:
	v_sub_u32_e32 v9, v4, v8
	v_lshl_add_u32 v9, v8, 4, v9
	v_ashrrev_i32_e32 v9, 4, v9
	v_lshlrev_b32_e32 v10, 2, v9
	ds_read_b32 v10, v10 offset:1024
	v_add_u32_e32 v11, 1, v9
	s_waitcnt lgkmcnt(0)
	v_cmp_lt_i32_e32 vcc, v10, v5
	v_cndmask_b32_e32 v4, v4, v11, vcc
	v_cndmask_b32_e32 v8, v9, v8, vcc
	s_or_b64 exec, exec, s[0:1]
	v_cmp_lt_i32_e32 vcc, v4, v8
	s_and_saveexec_b64 s[0:1], vcc
	s_cbranch_execz .LBB21_233
.LBB21_230:
	s_mov_b64 s[4:5], 0
.LBB21_231:                             ; =>This Inner Loop Header: Depth=1
	v_sub_u32_e32 v9, v4, v8
	v_lshl_add_u32 v9, v8, 1, v9
	v_ashrrev_i32_e32 v9, 1, v9
	v_lshlrev_b32_e32 v10, 2, v9
	ds_read_b32 v10, v10 offset:1024
	v_add_u32_e32 v11, 1, v9
	s_waitcnt lgkmcnt(0)
	v_cmp_lt_i32_e32 vcc, v10, v5
	v_cndmask_b32_e32 v4, v4, v11, vcc
	v_cndmask_b32_e32 v8, v9, v8, vcc
	v_cmp_ge_i32_e32 vcc, v4, v8
	s_or_b64 s[4:5], vcc, s[4:5]
	s_andn2_b64 exec, exec, s[4:5]
	s_cbranch_execnz .LBB21_231
; %bb.232:
	s_or_b64 exec, exec, s[4:5]
.LBB21_233:
	s_or_b64 exec, exec, s[0:1]
	v_add_u32_e32 v7, 0x400, v7
	v_cmp_lt_i32_e32 vcc, 0, v6
	v_mov_b32_e32 v8, 0
	v_mov_b32_e32 v9, v6
	s_and_saveexec_b64 s[0:1], vcc
	s_cbranch_execnz .LBB21_238
; %bb.234:
	s_or_b64 exec, exec, s[0:1]
	v_cmp_lt_i32_e32 vcc, v8, v9
	s_and_saveexec_b64 s[0:1], vcc
	s_cbranch_execnz .LBB21_239
.LBB21_235:
	s_or_b64 exec, exec, s[0:1]
	v_cmp_lt_i32_e32 vcc, v8, v9
	s_and_saveexec_b64 s[0:1], vcc
	s_cbranch_execnz .LBB21_240
.LBB21_236:
	s_or_b64 exec, exec, s[0:1]
	v_cmp_lt_i32_e32 vcc, v8, v9
	s_and_saveexec_b64 s[0:1], vcc
	s_cbranch_execnz .LBB21_241
.LBB21_237:
	s_or_b64 exec, exec, s[0:1]
	v_cmp_lt_i32_e32 vcc, v8, v9
	s_and_saveexec_b64 s[0:1], vcc
	s_cbranch_execnz .LBB21_242
	s_branch .LBB21_245
.LBB21_238:
	s_movk_i32 s4, 0x1ff
	v_mul_lo_u32 v8, v6, s4
	v_ashrrev_i32_e32 v9, 9, v8
	v_lshl_add_u32 v8, v9, 2, v3
	ds_read_b32 v8, v8 offset:1024
	v_add_u32_e32 v10, 1, v9
	s_waitcnt lgkmcnt(0)
	v_cmp_lt_i32_e32 vcc, v8, v5
	v_cndmask_b32_e32 v8, 0, v10, vcc
	v_cndmask_b32_e32 v9, v9, v6, vcc
	s_or_b64 exec, exec, s[0:1]
	v_cmp_lt_i32_e32 vcc, v8, v9
	s_and_saveexec_b64 s[0:1], vcc
	s_cbranch_execz .LBB21_235
.LBB21_239:
	v_sub_u32_e32 v10, v8, v9
	v_lshl_add_u32 v10, v9, 7, v10
	v_ashrrev_i32_e32 v10, 7, v10
	v_lshl_add_u32 v11, v10, 2, v3
	ds_read_b32 v11, v11 offset:1024
	v_add_u32_e32 v12, 1, v10
	s_waitcnt lgkmcnt(0)
	v_cmp_lt_i32_e32 vcc, v11, v5
	v_cndmask_b32_e32 v8, v8, v12, vcc
	v_cndmask_b32_e32 v9, v10, v9, vcc
	s_or_b64 exec, exec, s[0:1]
	v_cmp_lt_i32_e32 vcc, v8, v9
	s_and_saveexec_b64 s[0:1], vcc
	s_cbranch_execz .LBB21_236
.LBB21_240:
	v_sub_u32_e32 v10, v8, v9
	v_lshl_add_u32 v10, v9, 5, v10
	v_ashrrev_i32_e32 v10, 5, v10
	v_lshl_add_u32 v11, v10, 2, v3
	ds_read_b32 v11, v11 offset:1024
	v_add_u32_e32 v12, 1, v10
	s_waitcnt lgkmcnt(0)
	v_cmp_lt_i32_e32 vcc, v11, v5
	v_cndmask_b32_e32 v8, v8, v12, vcc
	v_cndmask_b32_e32 v9, v10, v9, vcc
	s_or_b64 exec, exec, s[0:1]
	v_cmp_lt_i32_e32 vcc, v8, v9
	s_and_saveexec_b64 s[0:1], vcc
	s_cbranch_execz .LBB21_237
.LBB21_241:
	v_sub_u32_e32 v10, v8, v9
	v_lshl_add_u32 v10, v9, 4, v10
	v_ashrrev_i32_e32 v10, 4, v10
	v_lshl_add_u32 v11, v10, 2, v3
	ds_read_b32 v11, v11 offset:1024
	v_add_u32_e32 v12, 1, v10
	s_waitcnt lgkmcnt(0)
	v_cmp_lt_i32_e32 vcc, v11, v5
	v_cndmask_b32_e32 v8, v8, v12, vcc
	v_cndmask_b32_e32 v9, v10, v9, vcc
	s_or_b64 exec, exec, s[0:1]
	v_cmp_lt_i32_e32 vcc, v8, v9
	s_and_saveexec_b64 s[0:1], vcc
	s_cbranch_execz .LBB21_245
.LBB21_242:
	v_add_u32_e32 v10, 0x400, v3
	s_mov_b64 s[4:5], 0
.LBB21_243:                             ; =>This Inner Loop Header: Depth=1
	v_sub_u32_e32 v11, v8, v9
	v_lshl_add_u32 v11, v9, 1, v11
	v_ashrrev_i32_e32 v11, 1, v11
	v_lshl_add_u32 v12, v11, 2, v10
	ds_read_b32 v12, v12
	v_add_u32_e32 v13, 1, v11
	s_waitcnt lgkmcnt(0)
	v_cmp_lt_i32_e32 vcc, v12, v5
	v_cndmask_b32_e32 v8, v8, v13, vcc
	v_cndmask_b32_e32 v9, v11, v9, vcc
	v_cmp_ge_i32_e32 vcc, v8, v9
	s_or_b64 s[4:5], vcc, s[4:5]
	s_andn2_b64 exec, exec, s[4:5]
	s_cbranch_execnz .LBB21_243
; %bb.244:
	s_or_b64 exec, exec, s[4:5]
.LBB21_245:
	s_or_b64 exec, exec, s[0:1]
	v_sub_u32_e32 v0, v0, v4
	v_sub_u32_e32 v10, v6, v8
	v_add_u32_e32 v9, v10, v0
	v_ashrrev_i32_e32 v0, 1, v9
	v_max_i32_e32 v0, v0, v10
	v_add3_u32 v8, v8, v0, 1
	v_min_i32_e32 v8, v8, v21
	v_sub_u32_e32 v8, v8, v6
	v_cmp_lt_i32_e32 vcc, 0, v8
	v_mov_b32_e32 v6, 0
	s_and_saveexec_b64 s[0:1], vcc
	s_cbranch_execz .LBB21_249
; %bb.246:
	s_mov_b64 s[4:5], 0
	v_mov_b32_e32 v6, 0
.LBB21_247:                             ; =>This Inner Loop Header: Depth=1
	v_add_u32_e32 v11, v6, v8
	v_ashrrev_i32_e32 v11, 1, v11
	v_lshl_add_u32 v12, v11, 2, v7
	ds_read_b32 v12, v12
	v_add_u32_e32 v13, 1, v11
	s_waitcnt lgkmcnt(0)
	v_cmp_gt_i32_e32 vcc, v12, v5
	v_cndmask_b32_e32 v6, v13, v6, vcc
	v_cndmask_b32_e32 v8, v8, v11, vcc
	v_cmp_ge_i32_e32 vcc, v6, v8
	s_or_b64 s[4:5], vcc, s[4:5]
	s_andn2_b64 exec, exec, s[4:5]
	s_cbranch_execnz .LBB21_247
; %bb.248:
	s_or_b64 exec, exec, s[4:5]
.LBB21_249:
	s_or_b64 exec, exec, s[0:1]
	s_waitcnt lgkmcnt(0)
	v_add_u32_e32 v5, v6, v10
	v_min_i32_e32 v6, v5, v0
	v_sub_u32_e32 v7, v9, v6
	v_add_u32_e32 v6, 1, v6
	v_cmp_eq_u32_e32 vcc, v7, v6
	v_cmp_lt_i32_e64 s[0:1], v0, v5
	s_and_b64 s[0:1], s[0:1], vcc
	v_cndmask_b32_e64 v5, 0, 1, s[0:1]
	v_add_u32_e32 v0, v7, v4
.LBB21_250:
	s_or_b64 exec, exec, s[2:3]
	v_add_u32_e32 v1, v5, v1
	v_sub_u32_e32 v4, v1, v0
	v_lshlrev_b32_e32 v5, 16, v20
	v_or_b32_e32 v5, v5, v21
	v_lshl_or_b32 v6, v0, 16, v4
	v_cmp_eq_u32_e64 s[2:3], 0, v16
	v_cndmask_b32_e64 v5, v6, v5, s[2:3]
	v_add_u32_e32 v6, -1, v16
	v_mov_b32_e32 v7, 0xff
	v_cndmask_b32_e64 v6, v6, v7, s[2:3]
	v_lshlrev_b32_e32 v6, 2, v6
	ds_write_b32 v6, v5
	s_waitcnt lgkmcnt(0)
	s_barrier
	v_lshlrev_b32_e32 v5, 2, v0
	v_lshl_add_u32 v3, v4, 2, v3
	ds_read_b32 v21, v2
	ds_read_b32 v24, v5 offset:1024
	ds_read_b32 v25, v3 offset:1024
	s_waitcnt lgkmcnt(2)
	v_cmp_le_i32_sdwa s[6:7], v21, v4 src0_sel:WORD_0 src1_sel:DWORD
	v_cmp_le_i32_sdwa s[4:5], sext(v21), v0 src0_sel:WORD_1 src1_sel:DWORD
	s_waitcnt lgkmcnt(0)
	v_cmp_lt_i32_e32 vcc, v25, v24
	v_cndmask_b32_e64 v2, 0, 1, vcc
	v_cndmask_b32_e64 v3, 0, 1, s[4:5]
	s_or_b64 vcc, s[4:5], s[6:7]
	v_cndmask_b32_e32 v2, v2, v3, vcc
	v_and_b32_e32 v2, 1, v2
	v_cmp_eq_u32_e64 s[0:1], 1, v2
	s_xor_b64 s[10:11], s[0:1], -1
	v_mov_b32_e32 v26, v24
	s_and_saveexec_b64 s[8:9], s[10:11]
	s_cbranch_execz .LBB21_252
; %bb.251:
	ds_read_b32 v26, v5 offset:1028
	v_add_u32_e32 v0, 1, v0
.LBB21_252:
	s_or_b64 exec, exec, s[8:9]
	s_xor_b64 s[8:9], s[4:5], -1
	v_cmp_lt_i32_e64 s[4:5], v24, v25
	v_cndmask_b32_e64 v3, 0, 1, s[4:5]
	s_and_b64 s[4:5], s[6:7], s[8:9]
	v_add_u32_e32 v2, v4, v20
	v_cndmask_b32_e64 v4, 0, 1, s[4:5]
	v_cndmask_b32_e32 v3, v3, v4, vcc
	v_and_b32_e32 v3, 1, v3
	v_cmp_eq_u32_e32 vcc, 1, v3
	s_xor_b64 s[6:7], vcc, -1
	v_mov_b32_e32 v27, v25
	s_and_saveexec_b64 s[4:5], s[6:7]
	s_cbranch_execz .LBB21_254
; %bb.253:
	v_lshlrev_b32_e32 v3, 2, v2
	ds_read_b32 v27, v3 offset:1028
	v_add_u32_e32 v2, 1, v2
.LBB21_254:
	s_or_b64 exec, exec, s[4:5]
	v_add_u32_sdwa v23, v21, v20 dst_sel:DWORD dst_unused:UNUSED_PAD src0_sel:WORD_0 src1_sel:DWORD
	v_cmp_ge_i32_e32 vcc, v2, v23
	v_cmp_ge_i32_sdwa s[8:9], v0, sext(v21) src0_sel:DWORD src1_sel:WORD_1
	s_waitcnt lgkmcnt(0)
	v_cmp_lt_i32_e64 s[4:5], v27, v26
	v_cndmask_b32_e64 v3, 0, 1, s[8:9]
	v_cndmask_b32_e64 v4, 0, 1, s[4:5]
	s_or_b64 s[4:5], s[8:9], vcc
	v_cndmask_b32_e64 v3, v4, v3, s[4:5]
	v_and_b32_e32 v3, 1, v3
	v_cmp_eq_u32_e64 s[4:5], 1, v3
	s_xor_b64 s[10:11], s[4:5], -1
	v_mov_b32_e32 v28, v26
	v_mov_b32_e32 v3, v0
	s_and_saveexec_b64 s[6:7], s[10:11]
	s_cbranch_execz .LBB21_256
; %bb.255:
	v_lshlrev_b32_e32 v3, 2, v0
	ds_read_b32 v28, v3 offset:1028
	v_add_u32_e32 v3, 1, v0
.LBB21_256:
	s_or_b64 exec, exec, s[6:7]
	v_cmp_lt_i32_e64 s[6:7], v26, v27
	s_or_b64 s[6:7], vcc, s[6:7]
	s_xor_b64 s[8:9], s[8:9], -1
	s_and_b64 s[6:7], s[8:9], s[6:7]
	s_xor_b64 s[8:9], s[6:7], -1
	v_mov_b32_e32 v29, v27
	v_mov_b32_e32 v4, v2
	s_and_saveexec_b64 s[6:7], s[8:9]
	s_cbranch_execz .LBB21_258
; %bb.257:
	v_lshlrev_b32_e32 v4, 2, v2
	ds_read_b32 v29, v4 offset:1028
	v_add_u32_e32 v4, 1, v2
.LBB21_258:
	s_or_b64 exec, exec, s[6:7]
	v_cmp_ge_i32_e32 vcc, v4, v23
	v_cmp_ge_i32_sdwa s[10:11], v3, sext(v21) src0_sel:DWORD src1_sel:WORD_1
	s_waitcnt lgkmcnt(0)
	v_cmp_lt_i32_e64 s[6:7], v29, v28
	v_cndmask_b32_e64 v5, 0, 1, s[10:11]
	v_cndmask_b32_e64 v6, 0, 1, s[6:7]
	s_or_b64 s[6:7], s[10:11], vcc
	v_cndmask_b32_e64 v5, v6, v5, s[6:7]
	v_and_b32_e32 v5, 1, v5
	v_cmp_eq_u32_e64 s[6:7], 1, v5
	s_xor_b64 s[12:13], s[6:7], -1
	v_mov_b32_e32 v30, v28
	v_mov_b32_e32 v5, v3
	s_and_saveexec_b64 s[8:9], s[12:13]
	s_cbranch_execz .LBB21_260
; %bb.259:
	v_lshlrev_b32_e32 v5, 2, v3
	ds_read_b32 v30, v5 offset:1028
	v_add_u32_e32 v5, 1, v3
.LBB21_260:
	s_or_b64 exec, exec, s[8:9]
	v_cmp_lt_i32_e64 s[8:9], v28, v29
	s_or_b64 s[8:9], vcc, s[8:9]
	s_xor_b64 s[10:11], s[10:11], -1
	s_and_b64 s[8:9], s[10:11], s[8:9]
	s_xor_b64 s[10:11], s[8:9], -1
	v_mov_b32_e32 v31, v29
	v_mov_b32_e32 v6, v4
	s_and_saveexec_b64 s[8:9], s[10:11]
	s_cbranch_execz .LBB21_262
; %bb.261:
	v_lshlrev_b32_e32 v6, 2, v4
	ds_read_b32 v31, v6 offset:1028
	v_add_u32_e32 v6, 1, v4
.LBB21_262:
	s_or_b64 exec, exec, s[8:9]
	;; [unrolled: 36-line block ×14, first 2 shown]
	v_add_u32_e32 v69, v57, v55
	v_add_u32_sdwa v70, v23, sext(v21) dst_sel:DWORD dst_unused:UNUSED_PAD src0_sel:DWORD src1_sel:WORD_1
	v_cmp_lt_i32_e32 vcc, v69, v70
	v_add_u32_e32 v67, v68, v67
	v_cndmask_b32_e64 v69, 0, 1, vcc
	v_cmp_lt_i32_e32 vcc, v67, v70
	v_add_u32_e32 v65, v66, v65
	v_cndmask_b32_e64 v67, 0, 1, vcc
	v_cmp_lt_i32_e32 vcc, v65, v70
	v_add_u32_e32 v63, v64, v63
	v_cndmask_b32_e64 v65, 0, 1, vcc
	v_cmp_lt_i32_e32 vcc, v63, v70
	v_add_u32_e32 v61, v62, v61
	v_cndmask_b32_e64 v63, 0, 1, vcc
	v_cmp_lt_i32_e32 vcc, v61, v70
	v_add_u32_e32 v59, v60, v59
	v_cndmask_b32_e64 v61, 0, 1, vcc
	v_cmp_lt_i32_e32 vcc, v59, v70
	v_add_u32_e32 v19, v58, v19
	v_add_u32_e32 v3, v4, v3
	;; [unrolled: 1-line block ×3, first 2 shown]
	v_cndmask_b32_e64 v59, 0, 1, vcc
	v_cmp_lt_i32_e32 vcc, v19, v70
	v_add_u32_e32 v15, v18, v15
	v_add_u32_e32 v7, v8, v7
	;; [unrolled: 1-line block ×3, first 2 shown]
	v_cmp_lt_i32_e64 s[40:41], v3, v70
	v_cmp_lt_i32_e64 s[42:43], v0, v70
	v_add_u32_e32 v1, v1, v20
	v_cndmask_b32_e64 v19, 0, 1, vcc
	v_cmp_lt_i32_e32 vcc, v15, v70
	v_add_u32_e32 v11, v12, v11
	v_add_u32_e32 v9, v10, v9
	v_cmp_lt_i32_e64 s[36:37], v7, v70
	v_cmp_lt_i32_e64 s[38:39], v5, v70
	v_cndmask_b32_e64 v3, 0, 1, s[40:41]
	v_cndmask_b32_e64 v0, 0, 1, s[42:43]
	v_cmp_lt_i32_e64 s[44:45], v1, v70
	v_cndmask_b32_e64 v15, 0, 1, vcc
	v_cmp_lt_i32_e32 vcc, v11, v70
	v_cmp_lt_i32_e64 s[34:35], v9, v70
	v_cndmask_b32_e64 v7, 0, 1, s[36:37]
	v_cndmask_b32_e64 v5, 0, 1, s[38:39]
	v_lshlrev_b32_e32 v3, 2, v3
	v_lshlrev_b32_e32 v0, 1, v0
	v_cndmask_b32_e64 v1, 0, 1, s[44:45]
	v_add_u32_e32 v13, v14, v13
	v_cndmask_b32_e64 v11, 0, 1, vcc
	v_cndmask_b32_e64 v9, 0, 1, s[34:35]
	v_lshlrev_b32_e32 v7, 4, v7
	v_lshlrev_b32_e32 v5, 3, v5
	v_or3_b32 v0, v0, v1, v3
	v_lshlrev_b32_e32 v11, 6, v11
	v_lshlrev_b32_e32 v9, 5, v9
	v_or3_b32 v0, v0, v5, v7
	v_cmp_lt_i32_e32 vcc, v13, v70
	v_or3_b32 v62, v0, v9, v11
	v_cndmask_b32_e64 v0, 0, 1, vcc
	v_lshlrev_b32_e32 v64, 11, v61
	v_lshlrev_b32_e32 v19, 9, v19
	;; [unrolled: 1-line block ×3, first 2 shown]
	v_lshl_or_b32 v61, v0, 7, v62
	v_lshlrev_b32_e32 v59, 10, v59
	v_or3_b32 v60, v15, v19, v61
	v_lshlrev_b32_e32 v65, 13, v65
	v_lshlrev_b32_e32 v63, 12, v63
	v_or3_b32 v59, v59, v64, v60
	v_lshlrev_b32_e32 v69, 15, v69
	v_lshlrev_b32_e32 v67, 14, v67
	v_or3_b32 v58, v63, v65, v59
	v_or3_b32 v20, v67, v69, v58
	v_bcnt_u32_b32 v8, v20, 0
	v_mov_b32_e32 v9, 0
	s_cmp_lg_u32 s58, 0
	v_mbcnt_lo_u32_b32 v63, -1, 0
	s_waitcnt lgkmcnt(0)
	s_barrier
	s_cbranch_scc0 .LBB21_339
; %bb.311:
	v_mov_b32_dpp v1, v8 row_shr:1 row_mask:0xf bank_mask:0xf
	v_add_co_u32_e32 v1, vcc, v1, v8
	v_mbcnt_hi_u32_b32 v18, -1, v63
	v_mov_b32_dpp v2, v9 row_shr:1 row_mask:0xf bank_mask:0xf
	v_addc_co_u32_e64 v3, s[46:47], 0, 0, vcc
	v_add_co_u32_e32 v4, vcc, 0, v1
	v_and_b32_e32 v0, 15, v18
	v_addc_co_u32_e32 v2, vcc, v2, v3, vcc
	v_cmp_eq_u32_e32 vcc, 0, v0
	v_cndmask_b32_e32 v1, v1, v8, vcc
	v_cndmask_b32_e64 v2, v2, 0, vcc
	v_cndmask_b32_e32 v3, v4, v8, vcc
	v_mov_b32_dpp v4, v1 row_shr:2 row_mask:0xf bank_mask:0xf
	v_mov_b32_dpp v5, v2 row_shr:2 row_mask:0xf bank_mask:0xf
	v_add_co_u32_e32 v4, vcc, v4, v3
	v_addc_co_u32_e32 v5, vcc, v5, v2, vcc
	v_cmp_lt_u32_e32 vcc, 1, v0
	v_cndmask_b32_e32 v1, v1, v4, vcc
	v_cndmask_b32_e32 v2, v2, v5, vcc
	v_cndmask_b32_e32 v3, v3, v4, vcc
	v_mov_b32_dpp v4, v1 row_shr:4 row_mask:0xf bank_mask:0xf
	v_mov_b32_dpp v5, v2 row_shr:4 row_mask:0xf bank_mask:0xf
	v_add_co_u32_e32 v4, vcc, v4, v3
	v_addc_co_u32_e32 v5, vcc, v5, v2, vcc
	v_cmp_lt_u32_e32 vcc, 3, v0
	v_cndmask_b32_e32 v1, v1, v4, vcc
	v_cndmask_b32_e32 v2, v2, v5, vcc
	;; [unrolled: 8-line block ×3, first 2 shown]
	v_cndmask_b32_e32 v2, v4, v6, vcc
	v_mov_b32_dpp v1, v0 row_bcast:15 row_mask:0xf bank_mask:0xf
	v_mov_b32_dpp v5, v3 row_bcast:15 row_mask:0xf bank_mask:0xf
	v_add_co_u32_e32 v4, vcc, v1, v2
	v_and_b32_e32 v7, 16, v18
	v_addc_co_u32_e32 v6, vcc, v5, v3, vcc
	v_cmp_eq_u32_e32 vcc, 0, v7
	v_cndmask_b32_e32 v1, v6, v3, vcc
	v_cndmask_b32_e32 v0, v4, v0, vcc
	v_cmp_eq_u32_e64 s[46:47], 0, v18
	v_mov_b32_dpp v7, v1 row_bcast:31 row_mask:0xf bank_mask:0xf
	v_mov_b32_dpp v5, v0 row_bcast:31 row_mask:0xf bank_mask:0xf
	v_cmp_ne_u32_e64 s[48:49], 0, v18
	v_pk_mov_b32 v[0:1], v[8:9], v[8:9] op_sel:[0,1]
	s_and_saveexec_b64 s[50:51], s[48:49]
; %bb.312:
	v_cndmask_b32_e32 v1, v6, v3, vcc
	v_cndmask_b32_e32 v0, v4, v2, vcc
	v_cmp_lt_u32_e32 vcc, 31, v18
	v_cndmask_b32_e32 v3, 0, v5, vcc
	v_cndmask_b32_e32 v2, 0, v7, vcc
	v_add_co_u32_e32 v0, vcc, v3, v0
	v_addc_co_u32_e32 v1, vcc, v2, v1, vcc
; %bb.313:
	s_or_b64 exec, exec, s[50:51]
	v_and_b32_e32 v3, 0x3c0, v16
	v_min_u32_e32 v3, 0xc0, v3
	v_or_b32_e32 v3, 63, v3
	v_lshrrev_b32_e32 v2, 6, v16
	v_cmp_eq_u32_e32 vcc, v3, v16
	s_and_saveexec_b64 s[48:49], vcc
	s_cbranch_execz .LBB21_315
; %bb.314:
	v_lshlrev_b32_e32 v3, 3, v2
	ds_write_b64 v3, v[0:1]
.LBB21_315:
	s_or_b64 exec, exec, s[48:49]
	v_cmp_gt_u32_e32 vcc, 4, v16
	s_waitcnt lgkmcnt(0)
	s_barrier
	s_and_saveexec_b64 s[50:51], vcc
	s_cbranch_execz .LBB21_317
; %bb.316:
	v_lshlrev_b32_e32 v1, 3, v16
	ds_read_b64 v[4:5], v1
	v_and_b32_e32 v3, 3, v18
	v_cmp_ne_u32_e64 s[48:49], 1, v3
	s_waitcnt lgkmcnt(0)
	v_mov_b32_dpp v6, v4 row_shr:1 row_mask:0xf bank_mask:0xf
	v_add_co_u32_e32 v6, vcc, v4, v6
	v_addc_co_u32_e32 v10, vcc, 0, v5, vcc
	v_mov_b32_dpp v7, v5 row_shr:1 row_mask:0xf bank_mask:0xf
	v_add_co_u32_e32 v11, vcc, 0, v6
	v_addc_co_u32_e32 v7, vcc, v7, v10, vcc
	v_cmp_eq_u32_e32 vcc, 0, v3
	v_cndmask_b32_e32 v6, v6, v4, vcc
	v_cndmask_b32_e32 v10, v7, v5, vcc
	s_nop 0
	v_mov_b32_dpp v6, v6 row_shr:2 row_mask:0xf bank_mask:0xf
	v_mov_b32_dpp v10, v10 row_shr:2 row_mask:0xf bank_mask:0xf
	v_cndmask_b32_e64 v3, 0, v6, s[48:49]
	v_cndmask_b32_e64 v6, 0, v10, s[48:49]
	v_add_co_u32_e64 v3, s[48:49], v3, v11
	v_addc_co_u32_e64 v6, s[48:49], v6, v7, s[48:49]
	v_cndmask_b32_e32 v5, v6, v5, vcc
	v_cndmask_b32_e32 v4, v3, v4, vcc
	ds_write_b64 v1, v[4:5]
.LBB21_317:
	s_or_b64 exec, exec, s[50:51]
	v_cmp_gt_u32_e32 vcc, 64, v16
	v_cmp_lt_u32_e64 s[48:49], 63, v16
	s_waitcnt lgkmcnt(0)
	s_barrier
	s_waitcnt lgkmcnt(0)
                                        ; implicit-def: $vgpr10_vgpr11
	s_and_saveexec_b64 s[50:51], s[48:49]
	s_cbranch_execz .LBB21_319
; %bb.318:
	v_lshl_add_u32 v1, v2, 3, -8
	ds_read_b64 v[10:11], v1
	s_waitcnt lgkmcnt(0)
	v_add_co_u32_e64 v0, s[48:49], v10, v0
.LBB21_319:
	s_or_b64 exec, exec, s[50:51]
	v_add_u32_e32 v1, -1, v18
	v_and_b32_e32 v2, 64, v18
	v_cmp_lt_i32_e64 s[48:49], v1, v2
	v_cndmask_b32_e64 v1, v1, v18, s[48:49]
	v_lshlrev_b32_e32 v1, 2, v1
	ds_bpermute_b32 v11, v1, v0
	s_and_saveexec_b64 s[54:55], vcc
	s_cbranch_execz .LBB21_338
; %bb.320:
	v_mov_b32_e32 v3, 0
	ds_read_b64 v[0:1], v3 offset:24
	s_and_saveexec_b64 s[48:49], s[46:47]
	s_cbranch_execz .LBB21_322
; %bb.321:
	s_add_i32 s50, s58, 64
	s_mov_b32 s51, 0
	s_lshl_b64 s[50:51], s[50:51], 4
	s_add_u32 s50, s56, s50
	s_addc_u32 s51, s57, s51
	v_mov_b32_e32 v2, 1
	v_pk_mov_b32 v[4:5], s[50:51], s[50:51] op_sel:[0,1]
	s_waitcnt lgkmcnt(0)
	;;#ASMSTART
	global_store_dwordx4 v[4:5], v[0:3] off	
s_waitcnt vmcnt(0)
	;;#ASMEND
.LBB21_322:
	s_or_b64 exec, exec, s[48:49]
	v_xad_u32 v12, v18, -1, s58
	v_add_u32_e32 v2, 64, v12
	v_lshlrev_b64 v[4:5], 4, v[2:3]
	v_mov_b32_e32 v2, s57
	v_add_co_u32_e32 v14, vcc, s56, v4
	v_addc_co_u32_e32 v15, vcc, v2, v5, vcc
	;;#ASMSTART
	global_load_dwordx4 v[4:7], v[14:15] off glc	
s_waitcnt vmcnt(0)
	;;#ASMEND
	v_and_b32_e32 v2, 0xff, v5
	v_and_b32_e32 v7, 0xff00, v5
	;; [unrolled: 1-line block ×3, first 2 shown]
	v_or3_b32 v2, 0, v2, v7
	v_or3_b32 v4, v4, 0, 0
	v_and_b32_e32 v5, 0xff000000, v5
	v_or3_b32 v5, v2, v13, v5
	v_or3_b32 v4, v4, 0, 0
	v_cmp_eq_u16_sdwa s[50:51], v6, v3 src0_sel:BYTE_0 src1_sel:DWORD
	s_and_saveexec_b64 s[48:49], s[50:51]
	s_cbranch_execz .LBB21_326
; %bb.323:
	s_mov_b64 s[50:51], 0
	v_mov_b32_e32 v2, 0
.LBB21_324:                             ; =>This Inner Loop Header: Depth=1
	;;#ASMSTART
	global_load_dwordx4 v[4:7], v[14:15] off glc	
s_waitcnt vmcnt(0)
	;;#ASMEND
	v_cmp_ne_u16_sdwa s[60:61], v6, v2 src0_sel:BYTE_0 src1_sel:DWORD
	s_or_b64 s[50:51], s[60:61], s[50:51]
	s_andn2_b64 exec, exec, s[50:51]
	s_cbranch_execnz .LBB21_324
; %bb.325:
	s_or_b64 exec, exec, s[50:51]
.LBB21_326:
	s_or_b64 exec, exec, s[48:49]
	v_and_b32_e32 v65, 63, v18
	v_mov_b32_e32 v64, 2
	v_cmp_ne_u32_e32 vcc, 63, v65
	v_cmp_eq_u16_sdwa s[48:49], v6, v64 src0_sel:BYTE_0 src1_sel:DWORD
	v_lshlrev_b64 v[14:15], v18, -1
	v_addc_co_u32_e32 v7, vcc, 0, v18, vcc
	v_and_b32_e32 v2, s49, v15
	v_lshlrev_b32_e32 v66, 2, v7
	v_or_b32_e32 v2, 0x80000000, v2
	ds_bpermute_b32 v7, v66, v4
	v_and_b32_e32 v3, s48, v14
	v_ffbl_b32_e32 v2, v2
	v_add_u32_e32 v2, 32, v2
	v_ffbl_b32_e32 v3, v3
	v_min_u32_e32 v2, v3, v2
	ds_bpermute_b32 v3, v66, v5
	s_waitcnt lgkmcnt(1)
	v_add_co_u32_e32 v7, vcc, v4, v7
	v_addc_co_u32_e32 v19, vcc, 0, v5, vcc
	v_add_co_u32_e32 v68, vcc, 0, v7
	v_cmp_gt_u32_e64 s[48:49], 62, v65
	s_waitcnt lgkmcnt(0)
	v_addc_co_u32_e32 v3, vcc, v3, v19, vcc
	v_cndmask_b32_e64 v19, 0, 1, s[48:49]
	v_cmp_lt_u32_e32 vcc, v65, v2
	v_lshlrev_b32_e32 v19, 1, v19
	v_cndmask_b32_e32 v7, v4, v7, vcc
	v_add_lshl_u32 v67, v19, v18, 2
	v_cndmask_b32_e32 v3, v5, v3, vcc
	ds_bpermute_b32 v19, v67, v7
	ds_bpermute_b32 v69, v67, v3
	v_cndmask_b32_e32 v70, v4, v68, vcc
	v_add_u32_e32 v68, 2, v65
	v_cmp_gt_u32_e64 s[50:51], 60, v65
	s_waitcnt lgkmcnt(1)
	v_add_co_u32_e64 v19, s[48:49], v19, v70
	s_waitcnt lgkmcnt(0)
	v_addc_co_u32_e64 v69, s[48:49], v69, v3, s[48:49]
	v_cmp_gt_u32_e64 s[48:49], v68, v2
	v_cndmask_b32_e64 v3, v69, v3, s[48:49]
	v_cndmask_b32_e64 v69, 0, 1, s[50:51]
	v_lshlrev_b32_e32 v69, 2, v69
	v_cndmask_b32_e64 v7, v19, v7, s[48:49]
	v_add_lshl_u32 v69, v69, v18, 2
	ds_bpermute_b32 v71, v69, v7
	ds_bpermute_b32 v72, v69, v3
	v_cndmask_b32_e64 v19, v19, v70, s[48:49]
	v_add_u32_e32 v70, 4, v65
	v_cmp_gt_u32_e64 s[50:51], 56, v65
	s_waitcnt lgkmcnt(1)
	v_add_co_u32_e64 v73, s[48:49], v71, v19
	s_waitcnt lgkmcnt(0)
	v_addc_co_u32_e64 v71, s[48:49], v72, v3, s[48:49]
	v_cmp_gt_u32_e64 s[48:49], v70, v2
	v_cndmask_b32_e64 v3, v71, v3, s[48:49]
	v_cndmask_b32_e64 v71, 0, 1, s[50:51]
	v_lshlrev_b32_e32 v71, 3, v71
	v_cndmask_b32_e64 v7, v73, v7, s[48:49]
	v_add_lshl_u32 v71, v71, v18, 2
	ds_bpermute_b32 v74, v71, v7
	v_cndmask_b32_e64 v19, v73, v19, s[48:49]
	ds_bpermute_b32 v73, v71, v3
	v_add_u32_e32 v72, 8, v65
	v_cmp_gt_u32_e64 s[50:51], 48, v65
	s_waitcnt lgkmcnt(1)
	v_add_co_u32_e64 v74, s[48:49], v74, v19
	s_waitcnt lgkmcnt(0)
	v_addc_co_u32_e64 v73, s[48:49], v73, v3, s[48:49]
	v_cmp_gt_u32_e64 s[48:49], v72, v2
	v_cndmask_b32_e64 v3, v73, v3, s[48:49]
	v_cndmask_b32_e64 v73, 0, 1, s[50:51]
	v_lshlrev_b32_e32 v73, 4, v73
	v_cndmask_b32_e64 v7, v74, v7, s[48:49]
	v_add_lshl_u32 v73, v73, v18, 2
	ds_bpermute_b32 v75, v73, v7
	ds_bpermute_b32 v76, v73, v3
	v_cndmask_b32_e64 v19, v74, v19, s[48:49]
	v_cmp_gt_u32_e64 s[50:51], 32, v65
	v_add_u32_e32 v74, 16, v65
	s_waitcnt lgkmcnt(1)
	v_add_co_u32_e64 v77, s[48:49], v75, v19
	s_waitcnt lgkmcnt(0)
	v_addc_co_u32_e64 v76, s[48:49], v76, v3, s[48:49]
	v_cndmask_b32_e64 v75, 0, 1, s[50:51]
	v_cmp_gt_u32_e64 s[48:49], v74, v2
	v_lshlrev_b32_e32 v75, 5, v75
	v_cndmask_b32_e64 v7, v77, v7, s[48:49]
	v_add_lshl_u32 v75, v75, v18, 2
	v_cndmask_b32_e64 v3, v76, v3, s[48:49]
	ds_bpermute_b32 v7, v75, v7
	ds_bpermute_b32 v18, v75, v3
	v_add_u32_e32 v76, 32, v65
	v_cndmask_b32_e64 v19, v77, v19, s[48:49]
	v_cmp_le_u32_e64 s[48:49], v76, v2
	s_waitcnt lgkmcnt(1)
	v_cndmask_b32_e64 v7, 0, v7, s[48:49]
	s_waitcnt lgkmcnt(0)
	v_cndmask_b32_e64 v2, 0, v18, s[48:49]
	v_add_co_u32_e64 v7, s[48:49], v7, v19
	v_addc_co_u32_e64 v2, s[48:49], v2, v3, s[48:49]
	v_mov_b32_e32 v13, 0
	v_cndmask_b32_e32 v5, v5, v2, vcc
	v_cndmask_b32_e32 v4, v4, v7, vcc
	s_branch .LBB21_328
.LBB21_327:                             ;   in Loop: Header=BB21_328 Depth=1
	s_or_b64 exec, exec, s[48:49]
	v_cmp_eq_u16_sdwa s[48:49], v6, v64 src0_sel:BYTE_0 src1_sel:DWORD
	v_and_b32_e32 v7, s49, v15
	v_or_b32_e32 v7, 0x80000000, v7
	ds_bpermute_b32 v19, v66, v4
	v_and_b32_e32 v18, s48, v14
	v_ffbl_b32_e32 v7, v7
	v_add_u32_e32 v7, 32, v7
	v_ffbl_b32_e32 v18, v18
	v_min_u32_e32 v7, v18, v7
	ds_bpermute_b32 v18, v66, v5
	s_waitcnt lgkmcnt(1)
	v_add_co_u32_e32 v19, vcc, v4, v19
	v_addc_co_u32_e32 v77, vcc, 0, v5, vcc
	v_add_co_u32_e32 v78, vcc, 0, v19
	s_waitcnt lgkmcnt(0)
	v_addc_co_u32_e32 v18, vcc, v18, v77, vcc
	v_cmp_lt_u32_e32 vcc, v65, v7
	v_cndmask_b32_e32 v19, v4, v19, vcc
	ds_bpermute_b32 v77, v67, v19
	v_cndmask_b32_e32 v18, v5, v18, vcc
	ds_bpermute_b32 v79, v67, v18
	v_cndmask_b32_e32 v78, v4, v78, vcc
	v_subrev_u32_e32 v12, 64, v12
	s_waitcnt lgkmcnt(1)
	v_add_co_u32_e64 v77, s[48:49], v77, v78
	s_waitcnt lgkmcnt(0)
	v_addc_co_u32_e64 v79, s[48:49], v79, v18, s[48:49]
	v_cmp_gt_u32_e64 s[48:49], v68, v7
	v_cndmask_b32_e64 v19, v77, v19, s[48:49]
	ds_bpermute_b32 v80, v69, v19
	v_cndmask_b32_e64 v18, v79, v18, s[48:49]
	ds_bpermute_b32 v79, v69, v18
	v_cndmask_b32_e64 v77, v77, v78, s[48:49]
	s_waitcnt lgkmcnt(1)
	v_add_co_u32_e64 v78, s[48:49], v80, v77
	s_waitcnt lgkmcnt(0)
	v_addc_co_u32_e64 v79, s[48:49], v79, v18, s[48:49]
	v_cmp_gt_u32_e64 s[48:49], v70, v7
	v_cndmask_b32_e64 v19, v78, v19, s[48:49]
	ds_bpermute_b32 v80, v71, v19
	v_cndmask_b32_e64 v18, v79, v18, s[48:49]
	ds_bpermute_b32 v79, v71, v18
	v_cndmask_b32_e64 v77, v78, v77, s[48:49]
	;; [unrolled: 10-line block ×3, first 2 shown]
	s_waitcnt lgkmcnt(1)
	v_add_co_u32_e64 v78, s[48:49], v80, v77
	s_waitcnt lgkmcnt(0)
	v_addc_co_u32_e64 v79, s[48:49], v79, v18, s[48:49]
	v_cmp_gt_u32_e64 s[48:49], v74, v7
	v_cndmask_b32_e64 v19, v78, v19, s[48:49]
	v_cndmask_b32_e64 v18, v79, v18, s[48:49]
	ds_bpermute_b32 v19, v75, v19
	ds_bpermute_b32 v79, v75, v18
	v_cndmask_b32_e64 v77, v78, v77, s[48:49]
	v_cmp_le_u32_e64 s[48:49], v76, v7
	s_waitcnt lgkmcnt(1)
	v_cndmask_b32_e64 v19, 0, v19, s[48:49]
	s_waitcnt lgkmcnt(0)
	v_cndmask_b32_e64 v7, 0, v79, s[48:49]
	v_add_co_u32_e64 v19, s[48:49], v19, v77
	v_addc_co_u32_e64 v7, s[48:49], v7, v18, s[48:49]
	v_cndmask_b32_e32 v4, v4, v19, vcc
	v_cndmask_b32_e32 v5, v5, v7, vcc
	v_add_co_u32_e32 v4, vcc, v4, v2
	v_addc_co_u32_e32 v5, vcc, v5, v3, vcc
.LBB21_328:                             ; =>This Loop Header: Depth=1
                                        ;     Child Loop BB21_331 Depth 2
	v_cmp_ne_u16_sdwa s[48:49], v6, v64 src0_sel:BYTE_0 src1_sel:DWORD
	v_cndmask_b32_e64 v2, 0, 1, s[48:49]
	;;#ASMSTART
	;;#ASMEND
	v_cmp_ne_u32_e32 vcc, 0, v2
	s_cmp_lg_u64 vcc, exec
	v_pk_mov_b32 v[2:3], v[4:5], v[4:5] op_sel:[0,1]
	s_cbranch_scc1 .LBB21_333
; %bb.329:                              ;   in Loop: Header=BB21_328 Depth=1
	v_lshlrev_b64 v[4:5], 4, v[12:13]
	v_mov_b32_e32 v6, s57
	v_add_co_u32_e32 v18, vcc, s56, v4
	v_addc_co_u32_e32 v19, vcc, v6, v5, vcc
	;;#ASMSTART
	global_load_dwordx4 v[4:7], v[18:19] off glc	
s_waitcnt vmcnt(0)
	;;#ASMEND
	v_and_b32_e32 v7, 0xff, v5
	v_and_b32_e32 v77, 0xff00, v5
	;; [unrolled: 1-line block ×3, first 2 shown]
	v_or3_b32 v7, 0, v7, v77
	v_or3_b32 v4, v4, 0, 0
	v_and_b32_e32 v5, 0xff000000, v5
	v_or3_b32 v5, v7, v78, v5
	v_or3_b32 v4, v4, 0, 0
	v_cmp_eq_u16_sdwa s[50:51], v6, v13 src0_sel:BYTE_0 src1_sel:DWORD
	s_and_saveexec_b64 s[48:49], s[50:51]
	s_cbranch_execz .LBB21_327
; %bb.330:                              ;   in Loop: Header=BB21_328 Depth=1
	s_mov_b64 s[50:51], 0
.LBB21_331:                             ;   Parent Loop BB21_328 Depth=1
                                        ; =>  This Inner Loop Header: Depth=2
	;;#ASMSTART
	global_load_dwordx4 v[4:7], v[18:19] off glc	
s_waitcnt vmcnt(0)
	;;#ASMEND
	v_cmp_ne_u16_sdwa s[60:61], v6, v13 src0_sel:BYTE_0 src1_sel:DWORD
	s_or_b64 s[50:51], s[60:61], s[50:51]
	s_andn2_b64 exec, exec, s[50:51]
	s_cbranch_execnz .LBB21_331
; %bb.332:                              ;   in Loop: Header=BB21_328 Depth=1
	s_or_b64 exec, exec, s[50:51]
	s_branch .LBB21_327
.LBB21_333:                             ;   in Loop: Header=BB21_328 Depth=1
                                        ; implicit-def: $vgpr4_vgpr5
                                        ; implicit-def: $vgpr6
	s_cbranch_execz .LBB21_328
; %bb.334:
	s_and_saveexec_b64 s[48:49], s[46:47]
	s_cbranch_execz .LBB21_336
; %bb.335:
	s_add_i32 s50, s58, 64
	s_mov_b32 s51, 0
	s_lshl_b64 s[50:51], s[50:51], 4
	s_add_u32 s50, s56, s50
	v_add_co_u32_e32 v4, vcc, v2, v0
	s_addc_u32 s51, s57, s51
	v_addc_co_u32_e32 v5, vcc, v3, v1, vcc
	v_mov_b32_e32 v6, 2
	v_mov_b32_e32 v7, 0
	v_pk_mov_b32 v[12:13], s[50:51], s[50:51] op_sel:[0,1]
	;;#ASMSTART
	global_store_dwordx4 v[12:13], v[4:7] off	
s_waitcnt vmcnt(0)
	;;#ASMEND
	ds_write_b128 v7, v[0:3] offset:32
.LBB21_336:
	s_or_b64 exec, exec, s[48:49]
	s_and_b64 exec, exec, s[2:3]
	s_cbranch_execz .LBB21_338
; %bb.337:
	v_mov_b32_e32 v0, 0
	ds_write_b64 v0, v[2:3] offset:24
.LBB21_338:
	s_or_b64 exec, exec, s[54:55]
	v_mov_b32_e32 v0, 0
	s_waitcnt lgkmcnt(0)
	s_barrier
	ds_read_b64 v[4:5], v0 offset:24
	s_waitcnt lgkmcnt(0)
	s_barrier
	ds_read_b128 v[0:3], v0 offset:32
	v_cndmask_b32_e64 v6, v11, v10, s[46:47]
	s_waitcnt lgkmcnt(0)
	v_cndmask_b32_e64 v1, v6, 0, s[2:3]
	v_add_co_u32_e32 v4, vcc, v4, v1
	s_branch .LBB21_351
.LBB21_339:
                                        ; implicit-def: $vgpr2_vgpr3
                                        ; implicit-def: $vgpr4_vgpr5
	s_cbranch_execz .LBB21_351
; %bb.340:
	s_nop 0
	v_mov_b32_dpp v2, v8 row_shr:1 row_mask:0xf bank_mask:0xf
	v_mov_b32_e32 v0, 0
	v_add_co_u32_e32 v2, vcc, v2, v8
	v_mbcnt_hi_u32_b32 v4, -1, v63
	v_mov_b32_dpp v0, v0 row_shr:1 row_mask:0xf bank_mask:0xf
	v_addc_co_u32_e64 v3, s[46:47], 0, 0, vcc
	v_add_co_u32_e32 v5, vcc, 0, v2
	v_and_b32_e32 v1, 15, v4
	v_addc_co_u32_e32 v0, vcc, v0, v3, vcc
	v_cmp_eq_u32_e32 vcc, 0, v1
	v_cndmask_b32_e32 v2, v2, v8, vcc
	v_cndmask_b32_e64 v0, v0, 0, vcc
	v_cndmask_b32_e32 v3, v5, v8, vcc
	v_mov_b32_dpp v5, v2 row_shr:2 row_mask:0xf bank_mask:0xf
	v_mov_b32_dpp v6, v0 row_shr:2 row_mask:0xf bank_mask:0xf
	v_add_co_u32_e32 v5, vcc, v5, v3
	v_addc_co_u32_e32 v6, vcc, v6, v0, vcc
	v_cmp_lt_u32_e32 vcc, 1, v1
	v_cndmask_b32_e32 v2, v2, v5, vcc
	v_cndmask_b32_e32 v0, v0, v6, vcc
	v_cndmask_b32_e32 v3, v3, v5, vcc
	v_mov_b32_dpp v5, v2 row_shr:4 row_mask:0xf bank_mask:0xf
	v_mov_b32_dpp v6, v0 row_shr:4 row_mask:0xf bank_mask:0xf
	v_add_co_u32_e32 v5, vcc, v5, v3
	v_addc_co_u32_e32 v6, vcc, v6, v0, vcc
	v_cmp_lt_u32_e32 vcc, 3, v1
	v_cndmask_b32_e32 v2, v2, v5, vcc
	v_cndmask_b32_e32 v0, v0, v6, vcc
	;; [unrolled: 8-line block ×3, first 2 shown]
	v_cndmask_b32_e32 v0, v3, v5, vcc
	v_mov_b32_dpp v3, v1 row_bcast:15 row_mask:0xf bank_mask:0xf
	v_mov_b32_dpp v2, v6 row_bcast:15 row_mask:0xf bank_mask:0xf
	v_and_b32_e32 v7, 16, v4
	v_add_co_u32_e32 v2, vcc, v2, v0
	v_addc_co_u32_e32 v5, vcc, v3, v1, vcc
	v_cmp_eq_u32_e64 s[46:47], 0, v7
	v_cndmask_b32_e64 v7, v5, v1, s[46:47]
	v_cndmask_b32_e64 v3, v2, v6, s[46:47]
	v_cmp_eq_u32_e32 vcc, 0, v4
	v_mov_b32_dpp v6, v7 row_bcast:31 row_mask:0xf bank_mask:0xf
	v_mov_b32_dpp v3, v3 row_bcast:31 row_mask:0xf bank_mask:0xf
	v_cmp_ne_u32_e64 s[48:49], 0, v4
	s_and_saveexec_b64 s[50:51], s[48:49]
; %bb.341:
	v_cndmask_b32_e64 v1, v5, v1, s[46:47]
	v_cndmask_b32_e64 v0, v2, v0, s[46:47]
	v_cmp_lt_u32_e64 s[46:47], 31, v4
	v_cndmask_b32_e64 v3, 0, v3, s[46:47]
	v_cndmask_b32_e64 v2, 0, v6, s[46:47]
	v_add_co_u32_e64 v8, s[46:47], v3, v0
	v_addc_co_u32_e64 v9, s[46:47], v2, v1, s[46:47]
; %bb.342:
	s_or_b64 exec, exec, s[50:51]
	v_and_b32_e32 v1, 0x3c0, v16
	v_min_u32_e32 v1, 0xc0, v1
	v_or_b32_e32 v1, 63, v1
	v_lshrrev_b32_e32 v0, 6, v16
	v_cmp_eq_u32_e64 s[46:47], v1, v16
	s_and_saveexec_b64 s[48:49], s[46:47]
	s_cbranch_execz .LBB21_344
; %bb.343:
	v_lshlrev_b32_e32 v1, 3, v0
	ds_write_b64 v1, v[8:9]
.LBB21_344:
	s_or_b64 exec, exec, s[48:49]
	v_cmp_gt_u32_e64 s[46:47], 4, v16
	s_waitcnt lgkmcnt(0)
	s_barrier
	s_and_saveexec_b64 s[50:51], s[46:47]
	s_cbranch_execz .LBB21_346
; %bb.345:
	v_lshlrev_b32_e32 v1, 3, v16
	ds_read_b64 v[2:3], v1
	v_and_b32_e32 v5, 3, v4
	v_cmp_ne_u32_e64 s[48:49], 1, v5
	s_waitcnt lgkmcnt(0)
	v_mov_b32_dpp v6, v2 row_shr:1 row_mask:0xf bank_mask:0xf
	v_add_co_u32_e64 v6, s[46:47], v2, v6
	v_addc_co_u32_e64 v9, s[46:47], 0, v3, s[46:47]
	v_mov_b32_dpp v7, v3 row_shr:1 row_mask:0xf bank_mask:0xf
	v_add_co_u32_e64 v10, s[46:47], 0, v6
	v_addc_co_u32_e64 v7, s[46:47], v7, v9, s[46:47]
	v_cmp_eq_u32_e64 s[46:47], 0, v5
	v_cndmask_b32_e64 v6, v6, v2, s[46:47]
	v_cndmask_b32_e64 v9, v7, v3, s[46:47]
	s_nop 0
	v_mov_b32_dpp v6, v6 row_shr:2 row_mask:0xf bank_mask:0xf
	v_mov_b32_dpp v9, v9 row_shr:2 row_mask:0xf bank_mask:0xf
	v_cndmask_b32_e64 v5, 0, v6, s[48:49]
	v_cndmask_b32_e64 v6, 0, v9, s[48:49]
	v_add_co_u32_e64 v5, s[48:49], v5, v10
	v_addc_co_u32_e64 v6, s[48:49], v6, v7, s[48:49]
	v_cndmask_b32_e64 v3, v6, v3, s[46:47]
	v_cndmask_b32_e64 v2, v5, v2, s[46:47]
	ds_write_b64 v1, v[2:3]
.LBB21_346:
	s_or_b64 exec, exec, s[50:51]
	v_cmp_lt_u32_e64 s[46:47], 63, v16
	v_pk_mov_b32 v[2:3], 0, 0
	s_waitcnt lgkmcnt(0)
	s_barrier
	s_and_saveexec_b64 s[48:49], s[46:47]
	s_cbranch_execz .LBB21_348
; %bb.347:
	v_lshl_add_u32 v0, v0, 3, -8
	ds_read_b64 v[2:3], v0
.LBB21_348:
	s_or_b64 exec, exec, s[48:49]
	v_add_u32_e32 v1, -1, v4
	s_waitcnt lgkmcnt(0)
	v_and_b32_e32 v3, 64, v4
	v_cmp_lt_i32_e64 s[46:47], v1, v3
	v_cndmask_b32_e64 v1, v1, v4, s[46:47]
	v_add_u32_e32 v0, v2, v8
	v_lshlrev_b32_e32 v1, 2, v1
	ds_bpermute_b32 v4, v1, v0
	v_mov_b32_e32 v3, 0
	ds_read_b64 v[0:1], v3 offset:24
	s_waitcnt lgkmcnt(1)
	v_cndmask_b32_e32 v4, v4, v2, vcc
	s_and_saveexec_b64 s[46:47], s[2:3]
	s_cbranch_execz .LBB21_350
; %bb.349:
	s_add_u32 s2, s56, 0x400
	s_addc_u32 s3, s57, 0
	v_mov_b32_e32 v2, 2
	v_pk_mov_b32 v[6:7], s[2:3], s[2:3] op_sel:[0,1]
	s_waitcnt lgkmcnt(0)
	;;#ASMSTART
	global_store_dwordx4 v[6:7], v[0:3] off	
s_waitcnt vmcnt(0)
	;;#ASMEND
.LBB21_350:
	s_or_b64 exec, exec, s[46:47]
	v_pk_mov_b32 v[2:3], 0, 0
.LBB21_351:
	s_waitcnt lgkmcnt(0)
	v_sub_u32_e32 v1, v4, v2
	s_barrier
	s_and_saveexec_b64 s[2:3], s[44:45]
	s_cbranch_execnz .LBB21_389
; %bb.352:
	s_or_b64 exec, exec, s[2:3]
	s_and_saveexec_b64 s[0:1], s[42:43]
	s_cbranch_execnz .LBB21_390
.LBB21_353:
	s_or_b64 exec, exec, s[0:1]
	s_and_saveexec_b64 s[0:1], s[40:41]
	s_cbranch_execnz .LBB21_391
.LBB21_354:
	s_or_b64 exec, exec, s[0:1]
	s_and_saveexec_b64 s[0:1], s[38:39]
	s_cbranch_execnz .LBB21_392
.LBB21_355:
	s_or_b64 exec, exec, s[0:1]
	s_and_saveexec_b64 s[0:1], s[36:37]
	s_cbranch_execnz .LBB21_393
.LBB21_356:
	s_or_b64 exec, exec, s[0:1]
	s_and_saveexec_b64 s[0:1], s[34:35]
	s_cbranch_execz .LBB21_358
.LBB21_357:
	v_cndmask_b32_e64 v4, v34, v35, s[12:13]
	v_lshlrev_b32_e32 v5, 2, v1
	v_add_u32_e32 v1, 1, v1
	ds_write_b32 v5, v4 offset:1024
.LBB21_358:
	s_or_b64 exec, exec, s[0:1]
	v_and_b32_e32 v4, 64, v62
	v_cmp_ne_u32_e32 vcc, 0, v4
	s_and_saveexec_b64 s[0:1], vcc
	s_cbranch_execz .LBB21_360
; %bb.359:
	v_cndmask_b32_e64 v4, v36, v37, s[14:15]
	v_lshlrev_b32_e32 v5, 2, v1
	v_add_u32_e32 v1, 1, v1
	ds_write_b32 v5, v4 offset:1024
.LBB21_360:
	s_or_b64 exec, exec, s[0:1]
	v_and_b32_e32 v4, 0x80, v61
	v_cmp_ne_u32_e32 vcc, 0, v4
	s_and_saveexec_b64 s[0:1], vcc
	s_cbranch_execz .LBB21_362
; %bb.361:
	v_cndmask_b32_e64 v4, v38, v39, s[16:17]
	v_lshlrev_b32_e32 v5, 2, v1
	v_add_u32_e32 v1, 1, v1
	ds_write_b32 v5, v4 offset:1024
.LBB21_362:
	;; [unrolled: 11-line block ×9, first 2 shown]
	s_or_b64 exec, exec, s[0:1]
	v_and_b32_e32 v4, 0x8000, v20
	v_cmp_ne_u32_e32 vcc, 0, v4
	s_and_saveexec_b64 s[2:3], vcc
	s_cbranch_execz .LBB21_378
; %bb.377:
	v_cmp_lt_i32_e32 vcc, v56, v54
	v_cmp_lt_i32_e64 s[0:1], v57, v23
	v_cmp_ge_i32_sdwa s[4:5], v55, sext(v21) src0_sel:DWORD src1_sel:WORD_1
	s_and_b64 s[0:1], s[0:1], vcc
	s_or_b64 vcc, s[4:5], s[0:1]
	v_cndmask_b32_e32 v4, v54, v56, vcc
	v_lshlrev_b32_e32 v1, 2, v1
	ds_write_b32 v1, v4 offset:1024
.LBB21_378:
	s_or_b64 exec, exec, s[2:3]
	v_cmp_lt_i32_e32 vcc, v16, v0
	s_waitcnt lgkmcnt(0)
	s_barrier
	s_and_saveexec_b64 s[0:1], vcc
	s_cbranch_execz .LBB21_388
; %bb.379:
	v_xad_u32 v1, v16, -1, v0
	s_movk_i32 s0, 0xff
	v_cmp_lt_u32_e32 vcc, s0, v1
	s_mov_b64 s[0:1], -1
	v_lshlrev_b64 v[2:3], 2, v[2:3]
	s_and_saveexec_b64 s[2:3], vcc
	s_cbranch_execz .LBB21_385
; %bb.380:
	v_lshrrev_b32_e32 v1, 8, v1
	v_add_u32_e32 v8, 1, v1
	v_mov_b32_e32 v1, s53
	v_add_co_u32_e32 v9, vcc, s52, v2
	v_addc_co_u32_e32 v10, vcc, v1, v3, vcc
	v_and_b32_e32 v1, 0x1fffffe, v8
	v_add_u32_e32 v17, 0x100, v16
	s_mov_b64 s[4:5], 0
	v_mov_b32_e32 v5, 0
	v_mov_b32_e32 v11, v1
	v_pk_mov_b32 v[6:7], v[16:17], v[16:17] op_sel:[0,1]
.LBB21_381:                             ; =>This Inner Loop Header: Depth=1
	ds_read2st64_b32 v[12:13], v22 offset1:4
	v_mov_b32_e32 v4, v6
	v_add_u32_e32 v11, -2, v11
	v_lshlrev_b64 v[14:15], 2, v[4:5]
	v_mov_b32_e32 v4, v7
	v_cmp_eq_u32_e32 vcc, 0, v11
	v_add_co_u32_e64 v14, s[0:1], v9, v14
	v_lshlrev_b64 v[18:19], 2, v[4:5]
	v_add_u32_e32 v6, 0x200, v6
	v_add_u32_e32 v22, 0x800, v22
	;; [unrolled: 1-line block ×3, first 2 shown]
	v_addc_co_u32_e64 v15, s[0:1], v10, v15, s[0:1]
	s_or_b64 s[4:5], vcc, s[4:5]
	v_add_co_u32_e32 v18, vcc, v9, v18
	v_addc_co_u32_e32 v19, vcc, v10, v19, vcc
	s_waitcnt lgkmcnt(0)
	global_store_dword v[14:15], v12, off
	global_store_dword v[18:19], v13, off
	s_andn2_b64 exec, exec, s[4:5]
	s_cbranch_execnz .LBB21_381
; %bb.382:
	s_or_b64 exec, exec, s[4:5]
	v_cmp_ne_u32_e32 vcc, v8, v1
	s_mov_b64 s[0:1], 0
	s_and_saveexec_b64 s[4:5], vcc
; %bb.383:
	s_mov_b64 s[0:1], exec
	v_lshl_add_u32 v16, v1, 8, v16
	v_mov_b32_e32 v17, 0
; %bb.384:
	s_or_b64 exec, exec, s[4:5]
	s_orn2_b64 s[0:1], s[0:1], exec
.LBB21_385:
	s_or_b64 exec, exec, s[2:3]
	s_and_b64 exec, exec, s[0:1]
	s_cbranch_execz .LBB21_388
; %bb.386:
	v_mov_b32_e32 v6, s53
	v_add_co_u32_e32 v2, vcc, s52, v2
	v_lshlrev_b64 v[4:5], 2, v[16:17]
	v_addc_co_u32_e32 v3, vcc, v6, v3, vcc
	v_mov_b32_e32 v1, 0x400
	v_add_co_u32_e32 v2, vcc, v2, v4
	v_lshl_add_u32 v1, v16, 2, v1
	v_addc_co_u32_e32 v3, vcc, v3, v5, vcc
	s_mov_b64 s[0:1], 0
.LBB21_387:                             ; =>This Inner Loop Header: Depth=1
	ds_read_b32 v4, v1
	v_add_u32_e32 v16, 0x100, v16
	v_cmp_ge_i32_e32 vcc, v16, v0
	s_or_b64 s[0:1], vcc, s[0:1]
	v_add_u32_e32 v1, 0x400, v1
	s_waitcnt lgkmcnt(0)
	global_store_dword v[2:3], v4, off
	v_add_co_u32_e32 v2, vcc, 0x400, v2
	v_addc_co_u32_e32 v3, vcc, 0, v3, vcc
	s_andn2_b64 exec, exec, s[0:1]
	s_cbranch_execnz .LBB21_387
.LBB21_388:
	s_endpgm
.LBB21_389:
	v_cndmask_b32_e64 v4, v24, v25, s[0:1]
	v_lshlrev_b32_e32 v5, 2, v1
	v_add_u32_e32 v1, 1, v1
	ds_write_b32 v5, v4 offset:1024
	s_or_b64 exec, exec, s[2:3]
	s_and_saveexec_b64 s[0:1], s[42:43]
	s_cbranch_execz .LBB21_353
.LBB21_390:
	v_cndmask_b32_e64 v4, v26, v27, s[4:5]
	v_lshlrev_b32_e32 v5, 2, v1
	v_add_u32_e32 v1, 1, v1
	ds_write_b32 v5, v4 offset:1024
	s_or_b64 exec, exec, s[0:1]
	s_and_saveexec_b64 s[0:1], s[40:41]
	s_cbranch_execz .LBB21_354
.LBB21_391:
	v_cndmask_b32_e64 v4, v28, v29, s[6:7]
	v_lshlrev_b32_e32 v5, 2, v1
	v_add_u32_e32 v1, 1, v1
	ds_write_b32 v5, v4 offset:1024
	s_or_b64 exec, exec, s[0:1]
	s_and_saveexec_b64 s[0:1], s[38:39]
	s_cbranch_execz .LBB21_355
.LBB21_392:
	v_cndmask_b32_e64 v4, v30, v31, s[8:9]
	v_lshlrev_b32_e32 v5, 2, v1
	v_add_u32_e32 v1, 1, v1
	ds_write_b32 v5, v4 offset:1024
	s_or_b64 exec, exec, s[0:1]
	s_and_saveexec_b64 s[0:1], s[36:37]
	s_cbranch_execz .LBB21_356
.LBB21_393:
	v_cndmask_b32_e64 v4, v32, v33, s[10:11]
	v_lshlrev_b32_e32 v5, 2, v1
	v_add_u32_e32 v1, 1, v1
	ds_write_b32 v5, v4 offset:1024
	s_or_b64 exec, exec, s[0:1]
	s_and_saveexec_b64 s[0:1], s[34:35]
	s_cbranch_execnz .LBB21_357
	s_branch .LBB21_358
	.section	.rodata,"a",@progbits
	.p2align	6, 0x0
	.amdhsa_kernel _ZN6thrust23THRUST_200600_302600_NS11hip_rocprim16__set_operations22lookback_set_op_kernelIN7rocprim17ROCPRIM_400000_NS13kernel_configILj256ELj16ELj4294967295EEELb0ENS0_6detail15normal_iteratorINS0_10device_ptrIKiEEEESD_PiSE_lNS9_INSA_IiEEEESE_NS0_4lessIiEENS2_16serial_set_unionENS5_6detail19lookback_scan_stateIlLb0ELb1EEEEEvT1_T2_T3_T4_T6_T7_T8_T9_PNS0_4pairIT5_SW_EEPSW_T10_NSK_16ordered_block_idIjEE
		.amdhsa_group_segment_fixed_size 36868
		.amdhsa_private_segment_fixed_size 0
		.amdhsa_kernarg_size 344
		.amdhsa_user_sgpr_count 6
		.amdhsa_user_sgpr_private_segment_buffer 1
		.amdhsa_user_sgpr_dispatch_ptr 0
		.amdhsa_user_sgpr_queue_ptr 0
		.amdhsa_user_sgpr_kernarg_segment_ptr 1
		.amdhsa_user_sgpr_dispatch_id 0
		.amdhsa_user_sgpr_flat_scratch_init 0
		.amdhsa_user_sgpr_kernarg_preload_length 0
		.amdhsa_user_sgpr_kernarg_preload_offset 0
		.amdhsa_user_sgpr_private_segment_size 0
		.amdhsa_uses_dynamic_stack 0
		.amdhsa_system_sgpr_private_segment_wavefront_offset 0
		.amdhsa_system_sgpr_workgroup_id_x 1
		.amdhsa_system_sgpr_workgroup_id_y 0
		.amdhsa_system_sgpr_workgroup_id_z 0
		.amdhsa_system_sgpr_workgroup_info 0
		.amdhsa_system_vgpr_workitem_id 2
		.amdhsa_next_free_vgpr 85
		.amdhsa_next_free_sgpr 64
		.amdhsa_accum_offset 88
		.amdhsa_reserve_vcc 1
		.amdhsa_reserve_flat_scratch 0
		.amdhsa_float_round_mode_32 0
		.amdhsa_float_round_mode_16_64 0
		.amdhsa_float_denorm_mode_32 3
		.amdhsa_float_denorm_mode_16_64 3
		.amdhsa_dx10_clamp 1
		.amdhsa_ieee_mode 1
		.amdhsa_fp16_overflow 0
		.amdhsa_tg_split 0
		.amdhsa_exception_fp_ieee_invalid_op 0
		.amdhsa_exception_fp_denorm_src 0
		.amdhsa_exception_fp_ieee_div_zero 0
		.amdhsa_exception_fp_ieee_overflow 0
		.amdhsa_exception_fp_ieee_underflow 0
		.amdhsa_exception_fp_ieee_inexact 0
		.amdhsa_exception_int_div_zero 0
	.end_amdhsa_kernel
	.section	.text._ZN6thrust23THRUST_200600_302600_NS11hip_rocprim16__set_operations22lookback_set_op_kernelIN7rocprim17ROCPRIM_400000_NS13kernel_configILj256ELj16ELj4294967295EEELb0ENS0_6detail15normal_iteratorINS0_10device_ptrIKiEEEESD_PiSE_lNS9_INSA_IiEEEESE_NS0_4lessIiEENS2_16serial_set_unionENS5_6detail19lookback_scan_stateIlLb0ELb1EEEEEvT1_T2_T3_T4_T6_T7_T8_T9_PNS0_4pairIT5_SW_EEPSW_T10_NSK_16ordered_block_idIjEE,"axG",@progbits,_ZN6thrust23THRUST_200600_302600_NS11hip_rocprim16__set_operations22lookback_set_op_kernelIN7rocprim17ROCPRIM_400000_NS13kernel_configILj256ELj16ELj4294967295EEELb0ENS0_6detail15normal_iteratorINS0_10device_ptrIKiEEEESD_PiSE_lNS9_INSA_IiEEEESE_NS0_4lessIiEENS2_16serial_set_unionENS5_6detail19lookback_scan_stateIlLb0ELb1EEEEEvT1_T2_T3_T4_T6_T7_T8_T9_PNS0_4pairIT5_SW_EEPSW_T10_NSK_16ordered_block_idIjEE,comdat
.Lfunc_end21:
	.size	_ZN6thrust23THRUST_200600_302600_NS11hip_rocprim16__set_operations22lookback_set_op_kernelIN7rocprim17ROCPRIM_400000_NS13kernel_configILj256ELj16ELj4294967295EEELb0ENS0_6detail15normal_iteratorINS0_10device_ptrIKiEEEESD_PiSE_lNS9_INSA_IiEEEESE_NS0_4lessIiEENS2_16serial_set_unionENS5_6detail19lookback_scan_stateIlLb0ELb1EEEEEvT1_T2_T3_T4_T6_T7_T8_T9_PNS0_4pairIT5_SW_EEPSW_T10_NSK_16ordered_block_idIjEE, .Lfunc_end21-_ZN6thrust23THRUST_200600_302600_NS11hip_rocprim16__set_operations22lookback_set_op_kernelIN7rocprim17ROCPRIM_400000_NS13kernel_configILj256ELj16ELj4294967295EEELb0ENS0_6detail15normal_iteratorINS0_10device_ptrIKiEEEESD_PiSE_lNS9_INSA_IiEEEESE_NS0_4lessIiEENS2_16serial_set_unionENS5_6detail19lookback_scan_stateIlLb0ELb1EEEEEvT1_T2_T3_T4_T6_T7_T8_T9_PNS0_4pairIT5_SW_EEPSW_T10_NSK_16ordered_block_idIjEE
                                        ; -- End function
	.section	.AMDGPU.csdata,"",@progbits
; Kernel info:
; codeLenInByte = 20036
; NumSgprs: 68
; NumVgprs: 85
; NumAgprs: 0
; TotalNumVgprs: 85
; ScratchSize: 0
; MemoryBound: 0
; FloatMode: 240
; IeeeMode: 1
; LDSByteSize: 36868 bytes/workgroup (compile time only)
; SGPRBlocks: 8
; VGPRBlocks: 10
; NumSGPRsForWavesPerEU: 68
; NumVGPRsForWavesPerEU: 85
; AccumOffset: 88
; Occupancy: 1
; WaveLimiterHint : 1
; COMPUTE_PGM_RSRC2:SCRATCH_EN: 0
; COMPUTE_PGM_RSRC2:USER_SGPR: 6
; COMPUTE_PGM_RSRC2:TRAP_HANDLER: 0
; COMPUTE_PGM_RSRC2:TGID_X_EN: 1
; COMPUTE_PGM_RSRC2:TGID_Y_EN: 0
; COMPUTE_PGM_RSRC2:TGID_Z_EN: 0
; COMPUTE_PGM_RSRC2:TIDIG_COMP_CNT: 2
; COMPUTE_PGM_RSRC3_GFX90A:ACCUM_OFFSET: 21
; COMPUTE_PGM_RSRC3_GFX90A:TG_SPLIT: 0
	.section	.text._ZN6thrust23THRUST_200600_302600_NS11hip_rocprim14__parallel_for6kernelILj256EZNS1_16__set_operations9doit_stepILb0ENS0_6detail15normal_iteratorINS0_10device_ptrIKiEEEESB_PiSC_lNS7_INS8_IiEEEESC_NS0_4lessIiEENS4_23serial_set_intersectionEEE10hipError_tPvRmT0_T1_T2_T3_T4_SP_T5_T6_PSP_T7_T8_P12ihipStream_tbEUllE_jLj1EEEvSL_SM_SM_,"axG",@progbits,_ZN6thrust23THRUST_200600_302600_NS11hip_rocprim14__parallel_for6kernelILj256EZNS1_16__set_operations9doit_stepILb0ENS0_6detail15normal_iteratorINS0_10device_ptrIKiEEEESB_PiSC_lNS7_INS8_IiEEEESC_NS0_4lessIiEENS4_23serial_set_intersectionEEE10hipError_tPvRmT0_T1_T2_T3_T4_SP_T5_T6_PSP_T7_T8_P12ihipStream_tbEUllE_jLj1EEEvSL_SM_SM_,comdat
	.protected	_ZN6thrust23THRUST_200600_302600_NS11hip_rocprim14__parallel_for6kernelILj256EZNS1_16__set_operations9doit_stepILb0ENS0_6detail15normal_iteratorINS0_10device_ptrIKiEEEESB_PiSC_lNS7_INS8_IiEEEESC_NS0_4lessIiEENS4_23serial_set_intersectionEEE10hipError_tPvRmT0_T1_T2_T3_T4_SP_T5_T6_PSP_T7_T8_P12ihipStream_tbEUllE_jLj1EEEvSL_SM_SM_ ; -- Begin function _ZN6thrust23THRUST_200600_302600_NS11hip_rocprim14__parallel_for6kernelILj256EZNS1_16__set_operations9doit_stepILb0ENS0_6detail15normal_iteratorINS0_10device_ptrIKiEEEESB_PiSC_lNS7_INS8_IiEEEESC_NS0_4lessIiEENS4_23serial_set_intersectionEEE10hipError_tPvRmT0_T1_T2_T3_T4_SP_T5_T6_PSP_T7_T8_P12ihipStream_tbEUllE_jLj1EEEvSL_SM_SM_
	.globl	_ZN6thrust23THRUST_200600_302600_NS11hip_rocprim14__parallel_for6kernelILj256EZNS1_16__set_operations9doit_stepILb0ENS0_6detail15normal_iteratorINS0_10device_ptrIKiEEEESB_PiSC_lNS7_INS8_IiEEEESC_NS0_4lessIiEENS4_23serial_set_intersectionEEE10hipError_tPvRmT0_T1_T2_T3_T4_SP_T5_T6_PSP_T7_T8_P12ihipStream_tbEUllE_jLj1EEEvSL_SM_SM_
	.p2align	8
	.type	_ZN6thrust23THRUST_200600_302600_NS11hip_rocprim14__parallel_for6kernelILj256EZNS1_16__set_operations9doit_stepILb0ENS0_6detail15normal_iteratorINS0_10device_ptrIKiEEEESB_PiSC_lNS7_INS8_IiEEEESC_NS0_4lessIiEENS4_23serial_set_intersectionEEE10hipError_tPvRmT0_T1_T2_T3_T4_SP_T5_T6_PSP_T7_T8_P12ihipStream_tbEUllE_jLj1EEEvSL_SM_SM_,@function
_ZN6thrust23THRUST_200600_302600_NS11hip_rocprim14__parallel_for6kernelILj256EZNS1_16__set_operations9doit_stepILb0ENS0_6detail15normal_iteratorINS0_10device_ptrIKiEEEESB_PiSC_lNS7_INS8_IiEEEESC_NS0_4lessIiEENS4_23serial_set_intersectionEEE10hipError_tPvRmT0_T1_T2_T3_T4_SP_T5_T6_PSP_T7_T8_P12ihipStream_tbEUllE_jLj1EEEvSL_SM_SM_: ; @_ZN6thrust23THRUST_200600_302600_NS11hip_rocprim14__parallel_for6kernelILj256EZNS1_16__set_operations9doit_stepILb0ENS0_6detail15normal_iteratorINS0_10device_ptrIKiEEEESB_PiSC_lNS7_INS8_IiEEEESC_NS0_4lessIiEENS4_23serial_set_intersectionEEE10hipError_tPvRmT0_T1_T2_T3_T4_SP_T5_T6_PSP_T7_T8_P12ihipStream_tbEUllE_jLj1EEEvSL_SM_SM_
; %bb.0:
	s_load_dwordx2 s[0:1], s[4:5], 0x30
	s_load_dwordx2 s[2:3], s[4:5], 0x20
	s_load_dwordx8 s[8:15], s[4:5], 0x0
	s_lshl_b32 s20, s6, 8
	s_waitcnt lgkmcnt(0)
	s_add_i32 s20, s20, s1
	s_sub_i32 s0, s0, s20
	s_cmpk_lt_u32 s0, 0x100
	s_cbranch_scc0 .LBB22_12
; %bb.1:
	v_cmp_gt_u32_e32 vcc, s0, v0
	s_mov_b64 s[4:5], 0
	s_mov_b64 s[0:1], 0
                                        ; implicit-def: $vgpr4_vgpr5
                                        ; implicit-def: $vgpr6_vgpr7
	s_and_saveexec_b64 s[6:7], vcc
	s_cbranch_execz .LBB22_13
; %bb.2:
	v_add_u32_e32 v6, s20, v0
	s_movk_i32 s0, 0xfff
	v_mad_u64_u32 v[2:3], s[0:1], v6, s0, 0
	s_add_u32 s0, s10, s8
	s_addc_u32 s1, s11, s9
	v_mov_b32_e32 v1, s1
	v_cmp_lt_i64_e32 vcc, s[0:1], v[2:3]
	v_cndmask_b32_e32 v5, v3, v1, vcc
	v_mov_b32_e32 v1, s0
	v_cndmask_b32_e32 v4, v2, v1, vcc
	v_mov_b32_e32 v1, s11
	v_subrev_co_u32_e32 v2, vcc, s10, v4
	v_subb_co_u32_e32 v3, vcc, v5, v1, vcc
	v_cmp_lt_i64_e32 vcc, 0, v[2:3]
	v_cndmask_b32_e32 v3, 0, v3, vcc
	v_cndmask_b32_e32 v2, 0, v2, vcc
	v_mov_b32_e32 v1, s9
	v_cmp_lt_i64_e32 vcc, s[8:9], v[4:5]
	v_cndmask_b32_e32 v9, v5, v1, vcc
	v_mov_b32_e32 v1, s8
	v_cndmask_b32_e32 v8, v4, v1, vcc
	v_mov_b32_e32 v7, 0
	s_mov_b64 s[0:1], 0
	v_cmp_lt_i64_e32 vcc, v[2:3], v[8:9]
	s_and_saveexec_b64 s[16:17], vcc
	s_cbranch_execz .LBB22_6
; %bb.3:
	v_lshlrev_b64 v[10:11], 2, v[4:5]
	v_mov_b32_e32 v12, s3
	v_add_co_u32_e32 v1, vcc, s2, v10
	v_addc_co_u32_e32 v10, vcc, v12, v11, vcc
	v_mov_b32_e32 v11, s15
.LBB22_4:                               ; =>This Inner Loop Header: Depth=1
	v_add_co_u32_e32 v12, vcc, v8, v2
	v_addc_co_u32_e32 v13, vcc, v9, v3, vcc
	v_ashrrev_i64 v[12:13], 1, v[12:13]
	v_lshlrev_b64 v[14:15], 2, v[12:13]
	v_not_b32_e32 v17, v13
	v_not_b32_e32 v16, v12
	v_add_co_u32_e32 v14, vcc, s14, v14
	v_addc_co_u32_e32 v15, vcc, v11, v15, vcc
	v_lshlrev_b64 v[16:17], 2, v[16:17]
	global_load_dword v18, v[14:15], off
	v_add_co_u32_e32 v14, vcc, v1, v16
	v_addc_co_u32_e32 v15, vcc, v10, v17, vcc
	global_load_dword v14, v[14:15], off
	v_add_co_u32_e32 v15, vcc, 1, v12
	v_addc_co_u32_e32 v16, vcc, 0, v13, vcc
	s_waitcnt vmcnt(0)
	v_cmp_lt_i32_e32 vcc, v14, v18
	v_cndmask_b32_e32 v9, v9, v13, vcc
	v_cndmask_b32_e32 v8, v8, v12, vcc
	;; [unrolled: 1-line block ×4, first 2 shown]
	v_cmp_ge_i64_e32 vcc, v[2:3], v[8:9]
	s_or_b64 s[0:1], vcc, s[0:1]
	s_andn2_b64 exec, exec, s[0:1]
	s_cbranch_execnz .LBB22_4
; %bb.5:
	s_or_b64 exec, exec, s[0:1]
.LBB22_6:
	s_or_b64 exec, exec, s[16:17]
	v_sub_co_u32_e32 v12, vcc, v4, v2
	v_subb_co_u32_e32 v13, vcc, v5, v3, vcc
	v_cmp_gt_i64_e32 vcc, s[10:11], v[12:13]
	v_pk_mov_b32 v[10:11], 0, 0
	s_and_saveexec_b64 s[16:17], vcc
	s_cbranch_execz .LBB22_38
; %bb.7:
	v_lshlrev_b64 v[8:9], 2, v[12:13]
	v_mov_b32_e32 v1, s3
	v_add_co_u32_e32 v10, vcc, s2, v8
	v_addc_co_u32_e32 v11, vcc, v1, v9, vcc
	global_load_dword v1, v[10:11], off
	v_cmp_lt_i64_e32 vcc, 0, v[2:3]
	v_pk_mov_b32 v[8:9], 0, 0
	v_pk_mov_b32 v[14:15], v[2:3], v[2:3] op_sel:[0,1]
	s_and_saveexec_b64 s[0:1], vcc
	s_cbranch_execnz .LBB22_14
; %bb.8:
	s_or_b64 exec, exec, s[0:1]
	v_cmp_lt_i64_e32 vcc, v[8:9], v[14:15]
	s_and_saveexec_b64 s[0:1], vcc
	s_cbranch_execnz .LBB22_15
.LBB22_9:
	s_or_b64 exec, exec, s[0:1]
	v_cmp_lt_i64_e32 vcc, v[8:9], v[14:15]
	s_and_saveexec_b64 s[0:1], vcc
	s_cbranch_execnz .LBB22_16
.LBB22_10:
	s_or_b64 exec, exec, s[0:1]
	v_cmp_lt_i64_e32 vcc, v[8:9], v[14:15]
	s_and_saveexec_b64 s[0:1], vcc
	s_cbranch_execnz .LBB22_17
.LBB22_11:
	s_or_b64 exec, exec, s[0:1]
	v_cmp_lt_i64_e32 vcc, v[8:9], v[14:15]
	s_and_saveexec_b64 s[0:1], vcc
	s_cbranch_execnz .LBB22_18
	s_branch .LBB22_21
.LBB22_12:
	s_mov_b64 s[0:1], 0
                                        ; implicit-def: $vgpr4_vgpr5
                                        ; implicit-def: $vgpr6_vgpr7
	s_cbranch_execnz .LBB22_39
	s_branch .LBB22_74
.LBB22_13:
	s_or_b64 exec, exec, s[6:7]
	s_and_b64 vcc, exec, s[4:5]
	s_cbranch_vccnz .LBB22_39
	s_branch .LBB22_74
.LBB22_14:
	s_movk_i32 s21, 0x1ff
	v_mad_u64_u32 v[8:9], s[18:19], v2, s21, 0
	v_mov_b32_e32 v14, v9
	v_mad_u64_u32 v[14:15], s[18:19], v3, s21, v[14:15]
	v_mov_b32_e32 v9, v14
	v_lshrrev_b64 v[14:15], 9, v[8:9]
	v_lshlrev_b64 v[8:9], 2, v[14:15]
	v_mov_b32_e32 v16, s15
	v_add_co_u32_e32 v8, vcc, s14, v8
	v_addc_co_u32_e32 v9, vcc, v16, v9, vcc
	global_load_dword v8, v[8:9], off
	v_add_co_u32_e32 v16, vcc, 1, v14
	v_addc_co_u32_e32 v9, vcc, 0, v15, vcc
	s_waitcnt vmcnt(0)
	v_cmp_lt_i32_e32 vcc, v8, v1
	v_cndmask_b32_e32 v9, 0, v9, vcc
	v_cndmask_b32_e32 v8, 0, v16, vcc
	v_cndmask_b32_e32 v15, v15, v3, vcc
	v_cndmask_b32_e32 v14, v14, v2, vcc
	s_or_b64 exec, exec, s[0:1]
	v_cmp_lt_i64_e32 vcc, v[8:9], v[14:15]
	s_and_saveexec_b64 s[0:1], vcc
	s_cbranch_execz .LBB22_9
.LBB22_15:
	s_movk_i32 s21, 0x7f
	v_mad_u64_u32 v[16:17], s[18:19], v14, s21, v[8:9]
	v_mov_b32_e32 v18, v17
	v_mad_u64_u32 v[18:19], s[18:19], v15, s21, v[18:19]
	v_mov_b32_e32 v17, v18
	v_lshrrev_b64 v[16:17], 7, v[16:17]
	v_lshlrev_b64 v[18:19], 2, v[16:17]
	v_mov_b32_e32 v20, s15
	v_add_co_u32_e32 v18, vcc, s14, v18
	v_addc_co_u32_e32 v19, vcc, v20, v19, vcc
	global_load_dword v18, v[18:19], off
	v_add_co_u32_e32 v19, vcc, 1, v16
	v_addc_co_u32_e32 v20, vcc, 0, v17, vcc
	s_waitcnt vmcnt(0)
	v_cmp_lt_i32_e32 vcc, v18, v1
	v_cndmask_b32_e32 v9, v9, v20, vcc
	v_cndmask_b32_e32 v8, v8, v19, vcc
	;; [unrolled: 1-line block ×4, first 2 shown]
	s_or_b64 exec, exec, s[0:1]
	v_cmp_lt_i64_e32 vcc, v[8:9], v[14:15]
	s_and_saveexec_b64 s[0:1], vcc
	s_cbranch_execz .LBB22_10
.LBB22_16:
	v_mad_u64_u32 v[16:17], s[18:19], v14, 31, v[8:9]
	v_mov_b32_e32 v18, v17
	v_mad_u64_u32 v[18:19], s[18:19], v15, 31, v[18:19]
	v_mov_b32_e32 v17, v18
	v_lshrrev_b64 v[16:17], 5, v[16:17]
	v_lshlrev_b64 v[18:19], 2, v[16:17]
	v_mov_b32_e32 v20, s15
	v_add_co_u32_e32 v18, vcc, s14, v18
	v_addc_co_u32_e32 v19, vcc, v20, v19, vcc
	global_load_dword v18, v[18:19], off
	v_add_co_u32_e32 v19, vcc, 1, v16
	v_addc_co_u32_e32 v20, vcc, 0, v17, vcc
	s_waitcnt vmcnt(0)
	v_cmp_lt_i32_e32 vcc, v18, v1
	v_cndmask_b32_e32 v9, v9, v20, vcc
	v_cndmask_b32_e32 v8, v8, v19, vcc
	;; [unrolled: 1-line block ×4, first 2 shown]
	s_or_b64 exec, exec, s[0:1]
	v_cmp_lt_i64_e32 vcc, v[8:9], v[14:15]
	s_and_saveexec_b64 s[0:1], vcc
	s_cbranch_execz .LBB22_11
.LBB22_17:
	v_mad_u64_u32 v[16:17], s[18:19], v14, 15, v[8:9]
	v_mov_b32_e32 v18, v17
	v_mad_u64_u32 v[18:19], s[18:19], v15, 15, v[18:19]
	v_mov_b32_e32 v17, v18
	v_lshrrev_b64 v[16:17], 4, v[16:17]
	v_lshlrev_b64 v[18:19], 2, v[16:17]
	v_mov_b32_e32 v20, s15
	v_add_co_u32_e32 v18, vcc, s14, v18
	v_addc_co_u32_e32 v19, vcc, v20, v19, vcc
	global_load_dword v18, v[18:19], off
	v_add_co_u32_e32 v19, vcc, 1, v16
	v_addc_co_u32_e32 v20, vcc, 0, v17, vcc
	s_waitcnt vmcnt(0)
	v_cmp_lt_i32_e32 vcc, v18, v1
	v_cndmask_b32_e32 v9, v9, v20, vcc
	v_cndmask_b32_e32 v8, v8, v19, vcc
	;; [unrolled: 1-line block ×4, first 2 shown]
	s_or_b64 exec, exec, s[0:1]
	v_cmp_lt_i64_e32 vcc, v[8:9], v[14:15]
	s_and_saveexec_b64 s[0:1], vcc
	s_cbranch_execz .LBB22_21
.LBB22_18:
	s_mov_b64 s[18:19], 0
	v_mov_b32_e32 v16, s15
.LBB22_19:                              ; =>This Inner Loop Header: Depth=1
	v_add_co_u32_e32 v18, vcc, v8, v14
	v_addc_co_u32_e32 v19, vcc, v9, v15, vcc
	v_ashrrev_i64 v[18:19], 1, v[18:19]
	v_lshlrev_b64 v[20:21], 2, v[18:19]
	v_add_co_u32_e32 v20, vcc, s14, v20
	v_addc_co_u32_e32 v21, vcc, v16, v21, vcc
	global_load_dword v17, v[20:21], off
	v_add_co_u32_e32 v20, vcc, 1, v18
	v_addc_co_u32_e32 v21, vcc, 0, v19, vcc
	s_waitcnt vmcnt(0)
	v_cmp_lt_i32_e32 vcc, v17, v1
	v_cndmask_b32_e32 v9, v9, v21, vcc
	v_cndmask_b32_e32 v8, v8, v20, vcc
	v_cndmask_b32_e32 v15, v19, v15, vcc
	v_cndmask_b32_e32 v14, v18, v14, vcc
	v_cmp_ge_i64_e32 vcc, v[8:9], v[14:15]
	s_or_b64 s[18:19], vcc, s[18:19]
	s_andn2_b64 exec, exec, s[18:19]
	s_cbranch_execnz .LBB22_19
; %bb.20:
	s_or_b64 exec, exec, s[18:19]
.LBB22_21:
	s_or_b64 exec, exec, s[0:1]
	v_cmp_lt_i64_e32 vcc, 0, v[12:13]
	v_pk_mov_b32 v[14:15], 0, 0
	v_pk_mov_b32 v[16:17], v[12:13], v[12:13] op_sel:[0,1]
	s_and_saveexec_b64 s[0:1], vcc
	s_cbranch_execnz .LBB22_26
; %bb.22:
	s_or_b64 exec, exec, s[0:1]
	v_cmp_lt_i64_e32 vcc, v[14:15], v[16:17]
	s_and_saveexec_b64 s[0:1], vcc
	s_cbranch_execnz .LBB22_27
.LBB22_23:
	s_or_b64 exec, exec, s[0:1]
	v_cmp_lt_i64_e32 vcc, v[14:15], v[16:17]
	s_and_saveexec_b64 s[0:1], vcc
	s_cbranch_execnz .LBB22_28
.LBB22_24:
	s_or_b64 exec, exec, s[0:1]
	v_cmp_lt_i64_e32 vcc, v[14:15], v[16:17]
	s_and_saveexec_b64 s[0:1], vcc
	s_cbranch_execnz .LBB22_29
.LBB22_25:
	s_or_b64 exec, exec, s[0:1]
	v_cmp_lt_i64_e32 vcc, v[14:15], v[16:17]
	s_and_saveexec_b64 s[0:1], vcc
	s_cbranch_execnz .LBB22_30
	s_branch .LBB22_33
.LBB22_26:
	s_movk_i32 s21, 0x1ff
	v_mad_u64_u32 v[14:15], s[18:19], v12, s21, 0
	v_mov_b32_e32 v16, v15
	v_mad_u64_u32 v[16:17], s[18:19], v13, s21, v[16:17]
	v_mov_b32_e32 v15, v16
	v_lshrrev_b64 v[16:17], 9, v[14:15]
	v_lshlrev_b64 v[14:15], 2, v[16:17]
	v_mov_b32_e32 v18, s3
	v_add_co_u32_e32 v14, vcc, s2, v14
	v_addc_co_u32_e32 v15, vcc, v18, v15, vcc
	global_load_dword v14, v[14:15], off
	v_add_co_u32_e32 v18, vcc, 1, v16
	v_addc_co_u32_e32 v15, vcc, 0, v17, vcc
	s_waitcnt vmcnt(0)
	v_cmp_lt_i32_e32 vcc, v14, v1
	v_cndmask_b32_e32 v15, 0, v15, vcc
	v_cndmask_b32_e32 v14, 0, v18, vcc
	;; [unrolled: 1-line block ×4, first 2 shown]
	s_or_b64 exec, exec, s[0:1]
	v_cmp_lt_i64_e32 vcc, v[14:15], v[16:17]
	s_and_saveexec_b64 s[0:1], vcc
	s_cbranch_execz .LBB22_23
.LBB22_27:
	s_movk_i32 s21, 0x7f
	v_mad_u64_u32 v[18:19], s[18:19], v16, s21, v[14:15]
	v_mov_b32_e32 v20, v19
	v_mad_u64_u32 v[20:21], s[18:19], v17, s21, v[20:21]
	v_mov_b32_e32 v19, v20
	v_lshrrev_b64 v[18:19], 7, v[18:19]
	v_lshlrev_b64 v[20:21], 2, v[18:19]
	v_mov_b32_e32 v22, s3
	v_add_co_u32_e32 v20, vcc, s2, v20
	v_addc_co_u32_e32 v21, vcc, v22, v21, vcc
	global_load_dword v20, v[20:21], off
	v_add_co_u32_e32 v21, vcc, 1, v18
	v_addc_co_u32_e32 v22, vcc, 0, v19, vcc
	s_waitcnt vmcnt(0)
	v_cmp_lt_i32_e32 vcc, v20, v1
	v_cndmask_b32_e32 v15, v15, v22, vcc
	v_cndmask_b32_e32 v14, v14, v21, vcc
	;; [unrolled: 1-line block ×4, first 2 shown]
	s_or_b64 exec, exec, s[0:1]
	v_cmp_lt_i64_e32 vcc, v[14:15], v[16:17]
	s_and_saveexec_b64 s[0:1], vcc
	s_cbranch_execz .LBB22_24
.LBB22_28:
	v_mad_u64_u32 v[18:19], s[18:19], v16, 31, v[14:15]
	v_mov_b32_e32 v20, v19
	v_mad_u64_u32 v[20:21], s[18:19], v17, 31, v[20:21]
	v_mov_b32_e32 v19, v20
	v_lshrrev_b64 v[18:19], 5, v[18:19]
	v_lshlrev_b64 v[20:21], 2, v[18:19]
	v_mov_b32_e32 v22, s3
	v_add_co_u32_e32 v20, vcc, s2, v20
	v_addc_co_u32_e32 v21, vcc, v22, v21, vcc
	global_load_dword v20, v[20:21], off
	v_add_co_u32_e32 v21, vcc, 1, v18
	v_addc_co_u32_e32 v22, vcc, 0, v19, vcc
	s_waitcnt vmcnt(0)
	v_cmp_lt_i32_e32 vcc, v20, v1
	v_cndmask_b32_e32 v15, v15, v22, vcc
	v_cndmask_b32_e32 v14, v14, v21, vcc
	;; [unrolled: 1-line block ×4, first 2 shown]
	s_or_b64 exec, exec, s[0:1]
	v_cmp_lt_i64_e32 vcc, v[14:15], v[16:17]
	s_and_saveexec_b64 s[0:1], vcc
	s_cbranch_execz .LBB22_25
.LBB22_29:
	v_mad_u64_u32 v[18:19], s[18:19], v16, 15, v[14:15]
	v_mov_b32_e32 v20, v19
	v_mad_u64_u32 v[20:21], s[18:19], v17, 15, v[20:21]
	v_mov_b32_e32 v19, v20
	v_lshrrev_b64 v[18:19], 4, v[18:19]
	v_lshlrev_b64 v[20:21], 2, v[18:19]
	v_mov_b32_e32 v22, s3
	v_add_co_u32_e32 v20, vcc, s2, v20
	v_addc_co_u32_e32 v21, vcc, v22, v21, vcc
	global_load_dword v20, v[20:21], off
	v_add_co_u32_e32 v21, vcc, 1, v18
	v_addc_co_u32_e32 v22, vcc, 0, v19, vcc
	s_waitcnt vmcnt(0)
	v_cmp_lt_i32_e32 vcc, v20, v1
	v_cndmask_b32_e32 v15, v15, v22, vcc
	v_cndmask_b32_e32 v14, v14, v21, vcc
	;; [unrolled: 1-line block ×4, first 2 shown]
	s_or_b64 exec, exec, s[0:1]
	v_cmp_lt_i64_e32 vcc, v[14:15], v[16:17]
	s_and_saveexec_b64 s[0:1], vcc
	s_cbranch_execz .LBB22_33
.LBB22_30:
	s_mov_b64 s[18:19], 0
	v_mov_b32_e32 v18, s3
.LBB22_31:                              ; =>This Inner Loop Header: Depth=1
	v_add_co_u32_e32 v20, vcc, v14, v16
	v_addc_co_u32_e32 v21, vcc, v15, v17, vcc
	v_ashrrev_i64 v[20:21], 1, v[20:21]
	v_lshlrev_b64 v[22:23], 2, v[20:21]
	v_add_co_u32_e32 v22, vcc, s2, v22
	v_addc_co_u32_e32 v23, vcc, v18, v23, vcc
	global_load_dword v19, v[22:23], off
	v_add_co_u32_e32 v22, vcc, 1, v20
	v_addc_co_u32_e32 v23, vcc, 0, v21, vcc
	s_waitcnt vmcnt(0)
	v_cmp_lt_i32_e32 vcc, v19, v1
	v_cndmask_b32_e32 v15, v15, v23, vcc
	v_cndmask_b32_e32 v14, v14, v22, vcc
	;; [unrolled: 1-line block ×4, first 2 shown]
	v_cmp_ge_i64_e32 vcc, v[14:15], v[16:17]
	s_or_b64 s[18:19], vcc, s[18:19]
	s_andn2_b64 exec, exec, s[18:19]
	s_cbranch_execnz .LBB22_31
; %bb.32:
	s_or_b64 exec, exec, s[18:19]
.LBB22_33:
	s_or_b64 exec, exec, s[0:1]
	v_sub_co_u32_e32 v2, vcc, v2, v8
	v_subb_co_u32_e32 v3, vcc, v3, v9, vcc
	v_sub_co_u32_e32 v18, vcc, v12, v14
	v_subb_co_u32_e32 v19, vcc, v13, v15, vcc
	v_add_co_u32_e32 v16, vcc, v18, v2
	v_addc_co_u32_e32 v17, vcc, v19, v3, vcc
	v_ashrrev_i64 v[2:3], 1, v[16:17]
	v_cmp_gt_i64_e32 vcc, v[2:3], v[18:19]
	v_cndmask_b32_e32 v2, v18, v2, vcc
	v_cndmask_b32_e32 v3, v19, v3, vcc
	v_add_co_u32_e32 v14, vcc, v14, v2
	v_addc_co_u32_e32 v15, vcc, v15, v3, vcc
	v_add_co_u32_e32 v14, vcc, 1, v14
	v_addc_co_u32_e32 v15, vcc, 0, v15, vcc
	v_mov_b32_e32 v20, s11
	v_cmp_gt_i64_e32 vcc, s[10:11], v[14:15]
	v_cndmask_b32_e32 v15, v20, v15, vcc
	v_mov_b32_e32 v20, s10
	v_cndmask_b32_e32 v14, v20, v14, vcc
	v_sub_co_u32_e32 v14, vcc, v14, v12
	v_subb_co_u32_e32 v15, vcc, v15, v13, vcc
	s_mov_b64 s[18:19], 0
	v_cmp_lt_i64_e32 vcc, 0, v[14:15]
	v_pk_mov_b32 v[12:13], 0, 0
	s_and_saveexec_b64 s[0:1], vcc
	s_cbranch_execz .LBB22_37
; %bb.34:
	v_pk_mov_b32 v[12:13], 0, 0
.LBB22_35:                              ; =>This Inner Loop Header: Depth=1
	v_add_co_u32_e32 v20, vcc, v12, v14
	v_addc_co_u32_e32 v21, vcc, v13, v15, vcc
	v_ashrrev_i64 v[20:21], 1, v[20:21]
	v_lshlrev_b64 v[22:23], 2, v[20:21]
	v_add_co_u32_e32 v22, vcc, v10, v22
	v_addc_co_u32_e32 v23, vcc, v11, v23, vcc
	global_load_dword v22, v[22:23], off
	v_add_co_u32_e32 v23, vcc, 1, v20
	v_addc_co_u32_e32 v24, vcc, 0, v21, vcc
	s_waitcnt vmcnt(0)
	v_cmp_gt_i32_e32 vcc, v22, v1
	v_cndmask_b32_e32 v13, v24, v13, vcc
	v_cndmask_b32_e32 v12, v23, v12, vcc
	;; [unrolled: 1-line block ×4, first 2 shown]
	v_cmp_ge_i64_e32 vcc, v[12:13], v[14:15]
	s_or_b64 s[18:19], vcc, s[18:19]
	s_andn2_b64 exec, exec, s[18:19]
	s_cbranch_execnz .LBB22_35
; %bb.36:
	s_or_b64 exec, exec, s[18:19]
	v_ashrrev_i32_e32 v13, 31, v12
.LBB22_37:
	s_or_b64 exec, exec, s[0:1]
	v_add_co_u32_e32 v10, vcc, v12, v18
	v_addc_co_u32_e32 v11, vcc, v13, v19, vcc
	v_cmp_lt_i64_e32 vcc, v[10:11], v[2:3]
	v_cndmask_b32_e32 v14, v2, v10, vcc
	s_waitcnt vmcnt(0)
	v_cndmask_b32_e32 v1, v3, v11, vcc
	v_sub_co_u32_e32 v12, vcc, v16, v14
	v_subb_co_u32_e32 v13, vcc, v17, v1, vcc
	v_add_co_u32_e32 v14, vcc, 1, v14
	v_addc_co_u32_e32 v15, vcc, 0, v1, vcc
	v_cmp_eq_u64_e32 vcc, v[12:13], v[14:15]
	v_cmp_lt_i64_e64 s[0:1], v[2:3], v[10:11]
	s_and_b64 s[0:1], vcc, s[0:1]
	v_cndmask_b32_e64 v10, 0, 1, s[0:1]
	s_mov_b32 s0, 0
	v_add_co_u32_e32 v2, vcc, v12, v8
	v_mov_b32_e32 v11, s0
	v_addc_co_u32_e32 v3, vcc, v13, v9, vcc
.LBB22_38:
	s_or_b64 exec, exec, s[16:17]
	v_add_co_u32_e32 v1, vcc, v10, v4
	v_addc_co_u32_e32 v5, vcc, v11, v5, vcc
	v_sub_co_u32_e32 v4, vcc, v1, v2
	s_mov_b64 s[0:1], exec
	v_subb_co_u32_e32 v5, vcc, v5, v3, vcc
	s_or_b64 exec, exec, s[6:7]
	s_and_b64 vcc, exec, s[4:5]
	s_cbranch_vccz .LBB22_74
.LBB22_39:
	v_add_u32_e32 v6, s20, v0
	s_movk_i32 s0, 0xfff
	v_mad_u64_u32 v[0:1], s[0:1], v6, s0, 0
	s_add_u32 s0, s10, s8
	s_addc_u32 s1, s11, s9
	v_mov_b32_e32 v2, s1
	v_cmp_lt_i64_e32 vcc, s[0:1], v[0:1]
	v_cndmask_b32_e32 v1, v1, v2, vcc
	v_mov_b32_e32 v2, s0
	v_cndmask_b32_e32 v0, v0, v2, vcc
	v_mov_b32_e32 v3, s11
	v_subrev_co_u32_e32 v2, vcc, s10, v0
	v_subb_co_u32_e32 v3, vcc, v1, v3, vcc
	v_cmp_lt_i64_e32 vcc, 0, v[2:3]
	v_cndmask_b32_e32 v3, 0, v3, vcc
	v_cndmask_b32_e32 v2, 0, v2, vcc
	v_mov_b32_e32 v4, s9
	v_cmp_lt_i64_e32 vcc, s[8:9], v[0:1]
	v_cndmask_b32_e32 v5, v1, v4, vcc
	v_mov_b32_e32 v4, s8
	v_cndmask_b32_e32 v4, v0, v4, vcc
	v_mov_b32_e32 v7, 0
	s_mov_b64 s[0:1], 0
	v_cmp_lt_i64_e32 vcc, v[2:3], v[4:5]
	s_and_saveexec_b64 s[4:5], vcc
	s_cbranch_execz .LBB22_43
; %bb.40:
	v_lshlrev_b64 v[8:9], 2, v[0:1]
	v_mov_b32_e32 v10, s3
	v_add_co_u32_e32 v8, vcc, s2, v8
	v_addc_co_u32_e32 v9, vcc, v10, v9, vcc
	v_mov_b32_e32 v10, s15
.LBB22_41:                              ; =>This Inner Loop Header: Depth=1
	v_add_co_u32_e32 v12, vcc, v4, v2
	v_addc_co_u32_e32 v13, vcc, v5, v3, vcc
	v_ashrrev_i64 v[12:13], 1, v[12:13]
	v_lshlrev_b64 v[14:15], 2, v[12:13]
	v_not_b32_e32 v17, v13
	v_not_b32_e32 v16, v12
	v_add_co_u32_e32 v14, vcc, s14, v14
	v_addc_co_u32_e32 v15, vcc, v10, v15, vcc
	v_lshlrev_b64 v[16:17], 2, v[16:17]
	global_load_dword v11, v[14:15], off
	v_add_co_u32_e32 v14, vcc, v8, v16
	v_addc_co_u32_e32 v15, vcc, v9, v17, vcc
	global_load_dword v14, v[14:15], off
	v_add_co_u32_e32 v15, vcc, 1, v12
	v_addc_co_u32_e32 v16, vcc, 0, v13, vcc
	s_waitcnt vmcnt(0)
	v_cmp_lt_i32_e32 vcc, v14, v11
	v_cndmask_b32_e32 v5, v5, v13, vcc
	v_cndmask_b32_e32 v4, v4, v12, vcc
	v_cndmask_b32_e32 v3, v16, v3, vcc
	v_cndmask_b32_e32 v2, v15, v2, vcc
	v_cmp_ge_i64_e32 vcc, v[2:3], v[4:5]
	s_or_b64 s[0:1], vcc, s[0:1]
	s_andn2_b64 exec, exec, s[0:1]
	s_cbranch_execnz .LBB22_41
; %bb.42:
	s_or_b64 exec, exec, s[0:1]
.LBB22_43:
	s_or_b64 exec, exec, s[4:5]
	v_sub_co_u32_e32 v10, vcc, v0, v2
	v_subb_co_u32_e32 v11, vcc, v1, v3, vcc
	v_cmp_gt_i64_e32 vcc, s[10:11], v[10:11]
	v_pk_mov_b32 v[8:9], 0, 0
	s_and_saveexec_b64 s[4:5], vcc
	s_cbranch_execz .LBB22_73
; %bb.44:
	v_lshlrev_b64 v[4:5], 2, v[10:11]
	v_mov_b32_e32 v9, s3
	v_add_co_u32_e32 v8, vcc, s2, v4
	v_addc_co_u32_e32 v9, vcc, v9, v5, vcc
	global_load_dword v18, v[8:9], off
	v_cmp_lt_i64_e32 vcc, 0, v[2:3]
	v_pk_mov_b32 v[4:5], 0, 0
	v_pk_mov_b32 v[12:13], v[2:3], v[2:3] op_sel:[0,1]
	s_and_saveexec_b64 s[0:1], vcc
	s_cbranch_execnz .LBB22_49
; %bb.45:
	s_or_b64 exec, exec, s[0:1]
	v_cmp_lt_i64_e32 vcc, v[4:5], v[12:13]
	s_and_saveexec_b64 s[0:1], vcc
	s_cbranch_execnz .LBB22_50
.LBB22_46:
	s_or_b64 exec, exec, s[0:1]
	v_cmp_lt_i64_e32 vcc, v[4:5], v[12:13]
	s_and_saveexec_b64 s[0:1], vcc
	s_cbranch_execnz .LBB22_51
.LBB22_47:
	s_or_b64 exec, exec, s[0:1]
	v_cmp_lt_i64_e32 vcc, v[4:5], v[12:13]
	s_and_saveexec_b64 s[0:1], vcc
	s_cbranch_execnz .LBB22_52
.LBB22_48:
	s_or_b64 exec, exec, s[0:1]
	v_cmp_lt_i64_e32 vcc, v[4:5], v[12:13]
	s_and_saveexec_b64 s[0:1], vcc
	s_cbranch_execnz .LBB22_53
	s_branch .LBB22_56
.LBB22_49:
	s_movk_i32 s8, 0x1ff
	v_mad_u64_u32 v[4:5], s[6:7], v2, s8, 0
	v_mov_b32_e32 v12, v5
	v_mad_u64_u32 v[12:13], s[6:7], v3, s8, v[12:13]
	v_mov_b32_e32 v5, v12
	v_lshrrev_b64 v[12:13], 9, v[4:5]
	v_lshlrev_b64 v[4:5], 2, v[12:13]
	v_mov_b32_e32 v14, s15
	v_add_co_u32_e32 v4, vcc, s14, v4
	v_addc_co_u32_e32 v5, vcc, v14, v5, vcc
	global_load_dword v4, v[4:5], off
	v_add_co_u32_e32 v14, vcc, 1, v12
	v_addc_co_u32_e32 v5, vcc, 0, v13, vcc
	s_waitcnt vmcnt(0)
	v_cmp_lt_i32_e32 vcc, v4, v18
	v_cndmask_b32_e32 v5, 0, v5, vcc
	v_cndmask_b32_e32 v4, 0, v14, vcc
	;; [unrolled: 1-line block ×4, first 2 shown]
	s_or_b64 exec, exec, s[0:1]
	v_cmp_lt_i64_e32 vcc, v[4:5], v[12:13]
	s_and_saveexec_b64 s[0:1], vcc
	s_cbranch_execz .LBB22_46
.LBB22_50:
	s_movk_i32 s8, 0x7f
	v_mad_u64_u32 v[14:15], s[6:7], v12, s8, v[4:5]
	v_mov_b32_e32 v16, v15
	v_mad_u64_u32 v[16:17], s[6:7], v13, s8, v[16:17]
	v_mov_b32_e32 v15, v16
	v_lshrrev_b64 v[14:15], 7, v[14:15]
	v_lshlrev_b64 v[16:17], 2, v[14:15]
	v_mov_b32_e32 v19, s15
	v_add_co_u32_e32 v16, vcc, s14, v16
	v_addc_co_u32_e32 v17, vcc, v19, v17, vcc
	global_load_dword v16, v[16:17], off
	v_add_co_u32_e32 v17, vcc, 1, v14
	v_addc_co_u32_e32 v19, vcc, 0, v15, vcc
	s_waitcnt vmcnt(0)
	v_cmp_lt_i32_e32 vcc, v16, v18
	v_cndmask_b32_e32 v5, v5, v19, vcc
	v_cndmask_b32_e32 v4, v4, v17, vcc
	;; [unrolled: 1-line block ×4, first 2 shown]
	s_or_b64 exec, exec, s[0:1]
	v_cmp_lt_i64_e32 vcc, v[4:5], v[12:13]
	s_and_saveexec_b64 s[0:1], vcc
	s_cbranch_execz .LBB22_47
.LBB22_51:
	v_mad_u64_u32 v[14:15], s[6:7], v12, 31, v[4:5]
	v_mov_b32_e32 v16, v15
	v_mad_u64_u32 v[16:17], s[6:7], v13, 31, v[16:17]
	v_mov_b32_e32 v15, v16
	v_lshrrev_b64 v[14:15], 5, v[14:15]
	v_lshlrev_b64 v[16:17], 2, v[14:15]
	v_mov_b32_e32 v19, s15
	v_add_co_u32_e32 v16, vcc, s14, v16
	v_addc_co_u32_e32 v17, vcc, v19, v17, vcc
	global_load_dword v16, v[16:17], off
	v_add_co_u32_e32 v17, vcc, 1, v14
	v_addc_co_u32_e32 v19, vcc, 0, v15, vcc
	s_waitcnt vmcnt(0)
	v_cmp_lt_i32_e32 vcc, v16, v18
	v_cndmask_b32_e32 v5, v5, v19, vcc
	v_cndmask_b32_e32 v4, v4, v17, vcc
	;; [unrolled: 1-line block ×4, first 2 shown]
	s_or_b64 exec, exec, s[0:1]
	v_cmp_lt_i64_e32 vcc, v[4:5], v[12:13]
	s_and_saveexec_b64 s[0:1], vcc
	s_cbranch_execz .LBB22_48
.LBB22_52:
	v_mad_u64_u32 v[14:15], s[6:7], v12, 15, v[4:5]
	v_mov_b32_e32 v16, v15
	v_mad_u64_u32 v[16:17], s[6:7], v13, 15, v[16:17]
	v_mov_b32_e32 v15, v16
	v_lshrrev_b64 v[14:15], 4, v[14:15]
	v_lshlrev_b64 v[16:17], 2, v[14:15]
	v_mov_b32_e32 v19, s15
	v_add_co_u32_e32 v16, vcc, s14, v16
	v_addc_co_u32_e32 v17, vcc, v19, v17, vcc
	global_load_dword v16, v[16:17], off
	v_add_co_u32_e32 v17, vcc, 1, v14
	v_addc_co_u32_e32 v19, vcc, 0, v15, vcc
	s_waitcnt vmcnt(0)
	v_cmp_lt_i32_e32 vcc, v16, v18
	v_cndmask_b32_e32 v5, v5, v19, vcc
	v_cndmask_b32_e32 v4, v4, v17, vcc
	;; [unrolled: 1-line block ×4, first 2 shown]
	s_or_b64 exec, exec, s[0:1]
	v_cmp_lt_i64_e32 vcc, v[4:5], v[12:13]
	s_and_saveexec_b64 s[0:1], vcc
	s_cbranch_execz .LBB22_56
.LBB22_53:
	s_mov_b64 s[6:7], 0
	v_mov_b32_e32 v14, s15
.LBB22_54:                              ; =>This Inner Loop Header: Depth=1
	v_add_co_u32_e32 v16, vcc, v4, v12
	v_addc_co_u32_e32 v17, vcc, v5, v13, vcc
	v_ashrrev_i64 v[16:17], 1, v[16:17]
	v_lshlrev_b64 v[20:21], 2, v[16:17]
	v_add_co_u32_e32 v20, vcc, s14, v20
	v_addc_co_u32_e32 v21, vcc, v14, v21, vcc
	global_load_dword v15, v[20:21], off
	v_add_co_u32_e32 v19, vcc, 1, v16
	v_addc_co_u32_e32 v20, vcc, 0, v17, vcc
	s_waitcnt vmcnt(0)
	v_cmp_lt_i32_e32 vcc, v15, v18
	v_cndmask_b32_e32 v5, v5, v20, vcc
	v_cndmask_b32_e32 v4, v4, v19, vcc
	;; [unrolled: 1-line block ×4, first 2 shown]
	v_cmp_ge_i64_e32 vcc, v[4:5], v[12:13]
	s_or_b64 s[6:7], vcc, s[6:7]
	s_andn2_b64 exec, exec, s[6:7]
	s_cbranch_execnz .LBB22_54
; %bb.55:
	s_or_b64 exec, exec, s[6:7]
.LBB22_56:
	s_or_b64 exec, exec, s[0:1]
	v_cmp_lt_i64_e32 vcc, 0, v[10:11]
	v_pk_mov_b32 v[12:13], 0, 0
	v_pk_mov_b32 v[14:15], v[10:11], v[10:11] op_sel:[0,1]
	s_and_saveexec_b64 s[0:1], vcc
	s_cbranch_execnz .LBB22_61
; %bb.57:
	s_or_b64 exec, exec, s[0:1]
	v_cmp_lt_i64_e32 vcc, v[12:13], v[14:15]
	s_and_saveexec_b64 s[0:1], vcc
	s_cbranch_execnz .LBB22_62
.LBB22_58:
	s_or_b64 exec, exec, s[0:1]
	v_cmp_lt_i64_e32 vcc, v[12:13], v[14:15]
	s_and_saveexec_b64 s[0:1], vcc
	s_cbranch_execnz .LBB22_63
.LBB22_59:
	s_or_b64 exec, exec, s[0:1]
	v_cmp_lt_i64_e32 vcc, v[12:13], v[14:15]
	s_and_saveexec_b64 s[0:1], vcc
	s_cbranch_execnz .LBB22_64
.LBB22_60:
	s_or_b64 exec, exec, s[0:1]
	v_cmp_lt_i64_e32 vcc, v[12:13], v[14:15]
	s_and_saveexec_b64 s[0:1], vcc
	s_cbranch_execnz .LBB22_65
	s_branch .LBB22_68
.LBB22_61:
	s_movk_i32 s8, 0x1ff
	v_mad_u64_u32 v[12:13], s[6:7], v10, s8, 0
	v_mov_b32_e32 v14, v13
	v_mad_u64_u32 v[14:15], s[6:7], v11, s8, v[14:15]
	v_mov_b32_e32 v13, v14
	v_lshrrev_b64 v[14:15], 9, v[12:13]
	v_lshlrev_b64 v[12:13], 2, v[14:15]
	v_mov_b32_e32 v16, s3
	v_add_co_u32_e32 v12, vcc, s2, v12
	v_addc_co_u32_e32 v13, vcc, v16, v13, vcc
	global_load_dword v12, v[12:13], off
	v_add_co_u32_e32 v16, vcc, 1, v14
	v_addc_co_u32_e32 v13, vcc, 0, v15, vcc
	s_waitcnt vmcnt(0)
	v_cmp_lt_i32_e32 vcc, v12, v18
	v_cndmask_b32_e32 v13, 0, v13, vcc
	v_cndmask_b32_e32 v12, 0, v16, vcc
	;; [unrolled: 1-line block ×4, first 2 shown]
	s_or_b64 exec, exec, s[0:1]
	v_cmp_lt_i64_e32 vcc, v[12:13], v[14:15]
	s_and_saveexec_b64 s[0:1], vcc
	s_cbranch_execz .LBB22_58
.LBB22_62:
	s_movk_i32 s8, 0x7f
	v_mad_u64_u32 v[16:17], s[6:7], v14, s8, v[12:13]
	v_mov_b32_e32 v20, v17
	v_mad_u64_u32 v[20:21], s[6:7], v15, s8, v[20:21]
	v_mov_b32_e32 v17, v20
	v_lshrrev_b64 v[16:17], 7, v[16:17]
	v_lshlrev_b64 v[20:21], 2, v[16:17]
	v_mov_b32_e32 v19, s3
	v_add_co_u32_e32 v20, vcc, s2, v20
	v_addc_co_u32_e32 v21, vcc, v19, v21, vcc
	global_load_dword v19, v[20:21], off
	v_add_co_u32_e32 v20, vcc, 1, v16
	v_addc_co_u32_e32 v21, vcc, 0, v17, vcc
	s_waitcnt vmcnt(0)
	v_cmp_lt_i32_e32 vcc, v19, v18
	v_cndmask_b32_e32 v13, v13, v21, vcc
	v_cndmask_b32_e32 v12, v12, v20, vcc
	;; [unrolled: 1-line block ×4, first 2 shown]
	s_or_b64 exec, exec, s[0:1]
	v_cmp_lt_i64_e32 vcc, v[12:13], v[14:15]
	s_and_saveexec_b64 s[0:1], vcc
	s_cbranch_execz .LBB22_59
.LBB22_63:
	v_mad_u64_u32 v[16:17], s[6:7], v14, 31, v[12:13]
	v_mov_b32_e32 v20, v17
	v_mad_u64_u32 v[20:21], s[6:7], v15, 31, v[20:21]
	v_mov_b32_e32 v17, v20
	v_lshrrev_b64 v[16:17], 5, v[16:17]
	v_lshlrev_b64 v[20:21], 2, v[16:17]
	v_mov_b32_e32 v19, s3
	v_add_co_u32_e32 v20, vcc, s2, v20
	v_addc_co_u32_e32 v21, vcc, v19, v21, vcc
	global_load_dword v19, v[20:21], off
	v_add_co_u32_e32 v20, vcc, 1, v16
	v_addc_co_u32_e32 v21, vcc, 0, v17, vcc
	s_waitcnt vmcnt(0)
	v_cmp_lt_i32_e32 vcc, v19, v18
	v_cndmask_b32_e32 v13, v13, v21, vcc
	v_cndmask_b32_e32 v12, v12, v20, vcc
	;; [unrolled: 1-line block ×4, first 2 shown]
	s_or_b64 exec, exec, s[0:1]
	v_cmp_lt_i64_e32 vcc, v[12:13], v[14:15]
	s_and_saveexec_b64 s[0:1], vcc
	s_cbranch_execz .LBB22_60
.LBB22_64:
	v_mad_u64_u32 v[16:17], s[6:7], v14, 15, v[12:13]
	v_mov_b32_e32 v20, v17
	v_mad_u64_u32 v[20:21], s[6:7], v15, 15, v[20:21]
	v_mov_b32_e32 v17, v20
	v_lshrrev_b64 v[16:17], 4, v[16:17]
	v_lshlrev_b64 v[20:21], 2, v[16:17]
	v_mov_b32_e32 v19, s3
	v_add_co_u32_e32 v20, vcc, s2, v20
	v_addc_co_u32_e32 v21, vcc, v19, v21, vcc
	global_load_dword v19, v[20:21], off
	v_add_co_u32_e32 v20, vcc, 1, v16
	v_addc_co_u32_e32 v21, vcc, 0, v17, vcc
	s_waitcnt vmcnt(0)
	v_cmp_lt_i32_e32 vcc, v19, v18
	v_cndmask_b32_e32 v13, v13, v21, vcc
	v_cndmask_b32_e32 v12, v12, v20, vcc
	;; [unrolled: 1-line block ×4, first 2 shown]
	s_or_b64 exec, exec, s[0:1]
	v_cmp_lt_i64_e32 vcc, v[12:13], v[14:15]
	s_and_saveexec_b64 s[0:1], vcc
	s_cbranch_execz .LBB22_68
.LBB22_65:
	s_mov_b64 s[6:7], 0
	v_mov_b32_e32 v16, s3
.LBB22_66:                              ; =>This Inner Loop Header: Depth=1
	v_add_co_u32_e32 v20, vcc, v12, v14
	v_addc_co_u32_e32 v21, vcc, v13, v15, vcc
	v_ashrrev_i64 v[20:21], 1, v[20:21]
	v_lshlrev_b64 v[22:23], 2, v[20:21]
	v_add_co_u32_e32 v22, vcc, s2, v22
	v_addc_co_u32_e32 v23, vcc, v16, v23, vcc
	global_load_dword v17, v[22:23], off
	v_add_co_u32_e32 v19, vcc, 1, v20
	v_addc_co_u32_e32 v22, vcc, 0, v21, vcc
	s_waitcnt vmcnt(0)
	v_cmp_lt_i32_e32 vcc, v17, v18
	v_cndmask_b32_e32 v13, v13, v22, vcc
	v_cndmask_b32_e32 v12, v12, v19, vcc
	;; [unrolled: 1-line block ×4, first 2 shown]
	v_cmp_ge_i64_e32 vcc, v[12:13], v[14:15]
	s_or_b64 s[6:7], vcc, s[6:7]
	s_andn2_b64 exec, exec, s[6:7]
	s_cbranch_execnz .LBB22_66
; %bb.67:
	s_or_b64 exec, exec, s[6:7]
.LBB22_68:
	s_or_b64 exec, exec, s[0:1]
	v_sub_co_u32_e32 v2, vcc, v2, v4
	v_subb_co_u32_e32 v3, vcc, v3, v5, vcc
	v_sub_co_u32_e32 v16, vcc, v10, v12
	v_subb_co_u32_e32 v17, vcc, v11, v13, vcc
	v_add_co_u32_e32 v14, vcc, v16, v2
	v_addc_co_u32_e32 v15, vcc, v17, v3, vcc
	v_ashrrev_i64 v[2:3], 1, v[14:15]
	v_cmp_gt_i64_e32 vcc, v[2:3], v[16:17]
	v_cndmask_b32_e32 v2, v16, v2, vcc
	v_cndmask_b32_e32 v3, v17, v3, vcc
	v_add_co_u32_e32 v12, vcc, v12, v2
	v_addc_co_u32_e32 v13, vcc, v13, v3, vcc
	v_add_co_u32_e32 v12, vcc, 1, v12
	v_addc_co_u32_e32 v13, vcc, 0, v13, vcc
	v_mov_b32_e32 v19, s11
	v_cmp_gt_i64_e32 vcc, s[10:11], v[12:13]
	v_cndmask_b32_e32 v13, v19, v13, vcc
	v_mov_b32_e32 v19, s10
	v_cndmask_b32_e32 v12, v19, v12, vcc
	v_sub_co_u32_e32 v12, vcc, v12, v10
	v_subb_co_u32_e32 v13, vcc, v13, v11, vcc
	s_mov_b64 s[2:3], 0
	v_cmp_lt_i64_e32 vcc, 0, v[12:13]
	v_pk_mov_b32 v[10:11], 0, 0
	s_and_saveexec_b64 s[0:1], vcc
	s_cbranch_execz .LBB22_72
; %bb.69:
	v_pk_mov_b32 v[10:11], 0, 0
.LBB22_70:                              ; =>This Inner Loop Header: Depth=1
	v_add_co_u32_e32 v20, vcc, v10, v12
	v_addc_co_u32_e32 v21, vcc, v11, v13, vcc
	v_ashrrev_i64 v[20:21], 1, v[20:21]
	v_lshlrev_b64 v[22:23], 2, v[20:21]
	v_add_co_u32_e32 v22, vcc, v8, v22
	v_addc_co_u32_e32 v23, vcc, v9, v23, vcc
	global_load_dword v19, v[22:23], off
	v_add_co_u32_e32 v22, vcc, 1, v20
	v_addc_co_u32_e32 v23, vcc, 0, v21, vcc
	s_waitcnt vmcnt(0)
	v_cmp_gt_i32_e32 vcc, v19, v18
	v_cndmask_b32_e32 v11, v23, v11, vcc
	v_cndmask_b32_e32 v10, v22, v10, vcc
	;; [unrolled: 1-line block ×4, first 2 shown]
	v_cmp_ge_i64_e32 vcc, v[10:11], v[12:13]
	s_or_b64 s[2:3], vcc, s[2:3]
	s_andn2_b64 exec, exec, s[2:3]
	s_cbranch_execnz .LBB22_70
; %bb.71:
	s_or_b64 exec, exec, s[2:3]
	v_ashrrev_i32_e32 v11, 31, v10
.LBB22_72:
	s_or_b64 exec, exec, s[0:1]
	v_add_co_u32_e32 v8, vcc, v10, v16
	v_addc_co_u32_e32 v9, vcc, v11, v17, vcc
	v_cmp_lt_i64_e32 vcc, v[8:9], v[2:3]
	v_cndmask_b32_e32 v12, v2, v8, vcc
	v_cndmask_b32_e32 v13, v3, v9, vcc
	v_sub_co_u32_e32 v10, vcc, v14, v12
	v_subb_co_u32_e32 v11, vcc, v15, v13, vcc
	v_add_co_u32_e32 v12, vcc, 1, v12
	v_addc_co_u32_e32 v13, vcc, 0, v13, vcc
	v_cmp_eq_u64_e32 vcc, v[10:11], v[12:13]
	v_cmp_lt_i64_e64 s[0:1], v[2:3], v[8:9]
	s_and_b64 s[0:1], vcc, s[0:1]
	v_cndmask_b32_e64 v8, 0, 1, s[0:1]
	s_mov_b32 s0, 0
	v_add_co_u32_e32 v2, vcc, v10, v4
	v_mov_b32_e32 v9, s0
	v_addc_co_u32_e32 v3, vcc, v11, v5, vcc
.LBB22_73:
	s_or_b64 exec, exec, s[4:5]
	v_add_co_u32_e32 v0, vcc, v8, v0
	v_addc_co_u32_e32 v1, vcc, v9, v1, vcc
	v_sub_co_u32_e32 v4, vcc, v0, v2
	v_subb_co_u32_e32 v5, vcc, v1, v3, vcc
	s_mov_b64 s[0:1], -1
.LBB22_74:
	s_and_saveexec_b64 s[2:3], s[0:1]
	s_cbranch_execnz .LBB22_76
; %bb.75:
	s_endpgm
.LBB22_76:
	v_lshlrev_b64 v[0:1], 4, v[6:7]
	v_mov_b32_e32 v6, s13
	v_add_co_u32_e32 v0, vcc, s12, v0
	v_addc_co_u32_e32 v1, vcc, v6, v1, vcc
	global_store_dwordx4 v[0:1], v[2:5], off
	s_endpgm
	.section	.rodata,"a",@progbits
	.p2align	6, 0x0
	.amdhsa_kernel _ZN6thrust23THRUST_200600_302600_NS11hip_rocprim14__parallel_for6kernelILj256EZNS1_16__set_operations9doit_stepILb0ENS0_6detail15normal_iteratorINS0_10device_ptrIKiEEEESB_PiSC_lNS7_INS8_IiEEEESC_NS0_4lessIiEENS4_23serial_set_intersectionEEE10hipError_tPvRmT0_T1_T2_T3_T4_SP_T5_T6_PSP_T7_T8_P12ihipStream_tbEUllE_jLj1EEEvSL_SM_SM_
		.amdhsa_group_segment_fixed_size 0
		.amdhsa_private_segment_fixed_size 0
		.amdhsa_kernarg_size 56
		.amdhsa_user_sgpr_count 6
		.amdhsa_user_sgpr_private_segment_buffer 1
		.amdhsa_user_sgpr_dispatch_ptr 0
		.amdhsa_user_sgpr_queue_ptr 0
		.amdhsa_user_sgpr_kernarg_segment_ptr 1
		.amdhsa_user_sgpr_dispatch_id 0
		.amdhsa_user_sgpr_flat_scratch_init 0
		.amdhsa_user_sgpr_kernarg_preload_length 0
		.amdhsa_user_sgpr_kernarg_preload_offset 0
		.amdhsa_user_sgpr_private_segment_size 0
		.amdhsa_uses_dynamic_stack 0
		.amdhsa_system_sgpr_private_segment_wavefront_offset 0
		.amdhsa_system_sgpr_workgroup_id_x 1
		.amdhsa_system_sgpr_workgroup_id_y 0
		.amdhsa_system_sgpr_workgroup_id_z 0
		.amdhsa_system_sgpr_workgroup_info 0
		.amdhsa_system_vgpr_workitem_id 0
		.amdhsa_next_free_vgpr 25
		.amdhsa_next_free_sgpr 22
		.amdhsa_accum_offset 28
		.amdhsa_reserve_vcc 1
		.amdhsa_reserve_flat_scratch 0
		.amdhsa_float_round_mode_32 0
		.amdhsa_float_round_mode_16_64 0
		.amdhsa_float_denorm_mode_32 3
		.amdhsa_float_denorm_mode_16_64 3
		.amdhsa_dx10_clamp 1
		.amdhsa_ieee_mode 1
		.amdhsa_fp16_overflow 0
		.amdhsa_tg_split 0
		.amdhsa_exception_fp_ieee_invalid_op 0
		.amdhsa_exception_fp_denorm_src 0
		.amdhsa_exception_fp_ieee_div_zero 0
		.amdhsa_exception_fp_ieee_overflow 0
		.amdhsa_exception_fp_ieee_underflow 0
		.amdhsa_exception_fp_ieee_inexact 0
		.amdhsa_exception_int_div_zero 0
	.end_amdhsa_kernel
	.section	.text._ZN6thrust23THRUST_200600_302600_NS11hip_rocprim14__parallel_for6kernelILj256EZNS1_16__set_operations9doit_stepILb0ENS0_6detail15normal_iteratorINS0_10device_ptrIKiEEEESB_PiSC_lNS7_INS8_IiEEEESC_NS0_4lessIiEENS4_23serial_set_intersectionEEE10hipError_tPvRmT0_T1_T2_T3_T4_SP_T5_T6_PSP_T7_T8_P12ihipStream_tbEUllE_jLj1EEEvSL_SM_SM_,"axG",@progbits,_ZN6thrust23THRUST_200600_302600_NS11hip_rocprim14__parallel_for6kernelILj256EZNS1_16__set_operations9doit_stepILb0ENS0_6detail15normal_iteratorINS0_10device_ptrIKiEEEESB_PiSC_lNS7_INS8_IiEEEESC_NS0_4lessIiEENS4_23serial_set_intersectionEEE10hipError_tPvRmT0_T1_T2_T3_T4_SP_T5_T6_PSP_T7_T8_P12ihipStream_tbEUllE_jLj1EEEvSL_SM_SM_,comdat
.Lfunc_end22:
	.size	_ZN6thrust23THRUST_200600_302600_NS11hip_rocprim14__parallel_for6kernelILj256EZNS1_16__set_operations9doit_stepILb0ENS0_6detail15normal_iteratorINS0_10device_ptrIKiEEEESB_PiSC_lNS7_INS8_IiEEEESC_NS0_4lessIiEENS4_23serial_set_intersectionEEE10hipError_tPvRmT0_T1_T2_T3_T4_SP_T5_T6_PSP_T7_T8_P12ihipStream_tbEUllE_jLj1EEEvSL_SM_SM_, .Lfunc_end22-_ZN6thrust23THRUST_200600_302600_NS11hip_rocprim14__parallel_for6kernelILj256EZNS1_16__set_operations9doit_stepILb0ENS0_6detail15normal_iteratorINS0_10device_ptrIKiEEEESB_PiSC_lNS7_INS8_IiEEEESC_NS0_4lessIiEENS4_23serial_set_intersectionEEE10hipError_tPvRmT0_T1_T2_T3_T4_SP_T5_T6_PSP_T7_T8_P12ihipStream_tbEUllE_jLj1EEEvSL_SM_SM_
                                        ; -- End function
	.section	.AMDGPU.csdata,"",@progbits
; Kernel info:
; codeLenInByte = 3988
; NumSgprs: 26
; NumVgprs: 25
; NumAgprs: 0
; TotalNumVgprs: 25
; ScratchSize: 0
; MemoryBound: 0
; FloatMode: 240
; IeeeMode: 1
; LDSByteSize: 0 bytes/workgroup (compile time only)
; SGPRBlocks: 3
; VGPRBlocks: 3
; NumSGPRsForWavesPerEU: 26
; NumVGPRsForWavesPerEU: 25
; AccumOffset: 28
; Occupancy: 8
; WaveLimiterHint : 0
; COMPUTE_PGM_RSRC2:SCRATCH_EN: 0
; COMPUTE_PGM_RSRC2:USER_SGPR: 6
; COMPUTE_PGM_RSRC2:TRAP_HANDLER: 0
; COMPUTE_PGM_RSRC2:TGID_X_EN: 1
; COMPUTE_PGM_RSRC2:TGID_Y_EN: 0
; COMPUTE_PGM_RSRC2:TGID_Z_EN: 0
; COMPUTE_PGM_RSRC2:TIDIG_COMP_CNT: 0
; COMPUTE_PGM_RSRC3_GFX90A:ACCUM_OFFSET: 6
; COMPUTE_PGM_RSRC3_GFX90A:TG_SPLIT: 0
	.section	.text._ZN6thrust23THRUST_200600_302600_NS11hip_rocprim16__set_operations22lookback_set_op_kernelIN7rocprim17ROCPRIM_400000_NS13kernel_configILj256ELj16ELj4294967295EEELb0ENS0_6detail15normal_iteratorINS0_10device_ptrIKiEEEESD_PiSE_lNS9_INSA_IiEEEESE_NS0_4lessIiEENS2_23serial_set_intersectionENS5_6detail19lookback_scan_stateIlLb0ELb1EEEEEvT1_T2_T3_T4_T6_T7_T8_T9_PNS0_4pairIT5_SW_EEPSW_T10_NSK_16ordered_block_idIjEE,"axG",@progbits,_ZN6thrust23THRUST_200600_302600_NS11hip_rocprim16__set_operations22lookback_set_op_kernelIN7rocprim17ROCPRIM_400000_NS13kernel_configILj256ELj16ELj4294967295EEELb0ENS0_6detail15normal_iteratorINS0_10device_ptrIKiEEEESD_PiSE_lNS9_INSA_IiEEEESE_NS0_4lessIiEENS2_23serial_set_intersectionENS5_6detail19lookback_scan_stateIlLb0ELb1EEEEEvT1_T2_T3_T4_T6_T7_T8_T9_PNS0_4pairIT5_SW_EEPSW_T10_NSK_16ordered_block_idIjEE,comdat
	.protected	_ZN6thrust23THRUST_200600_302600_NS11hip_rocprim16__set_operations22lookback_set_op_kernelIN7rocprim17ROCPRIM_400000_NS13kernel_configILj256ELj16ELj4294967295EEELb0ENS0_6detail15normal_iteratorINS0_10device_ptrIKiEEEESD_PiSE_lNS9_INSA_IiEEEESE_NS0_4lessIiEENS2_23serial_set_intersectionENS5_6detail19lookback_scan_stateIlLb0ELb1EEEEEvT1_T2_T3_T4_T6_T7_T8_T9_PNS0_4pairIT5_SW_EEPSW_T10_NSK_16ordered_block_idIjEE ; -- Begin function _ZN6thrust23THRUST_200600_302600_NS11hip_rocprim16__set_operations22lookback_set_op_kernelIN7rocprim17ROCPRIM_400000_NS13kernel_configILj256ELj16ELj4294967295EEELb0ENS0_6detail15normal_iteratorINS0_10device_ptrIKiEEEESD_PiSE_lNS9_INSA_IiEEEESE_NS0_4lessIiEENS2_23serial_set_intersectionENS5_6detail19lookback_scan_stateIlLb0ELb1EEEEEvT1_T2_T3_T4_T6_T7_T8_T9_PNS0_4pairIT5_SW_EEPSW_T10_NSK_16ordered_block_idIjEE
	.globl	_ZN6thrust23THRUST_200600_302600_NS11hip_rocprim16__set_operations22lookback_set_op_kernelIN7rocprim17ROCPRIM_400000_NS13kernel_configILj256ELj16ELj4294967295EEELb0ENS0_6detail15normal_iteratorINS0_10device_ptrIKiEEEESD_PiSE_lNS9_INSA_IiEEEESE_NS0_4lessIiEENS2_23serial_set_intersectionENS5_6detail19lookback_scan_stateIlLb0ELb1EEEEEvT1_T2_T3_T4_T6_T7_T8_T9_PNS0_4pairIT5_SW_EEPSW_T10_NSK_16ordered_block_idIjEE
	.p2align	8
	.type	_ZN6thrust23THRUST_200600_302600_NS11hip_rocprim16__set_operations22lookback_set_op_kernelIN7rocprim17ROCPRIM_400000_NS13kernel_configILj256ELj16ELj4294967295EEELb0ENS0_6detail15normal_iteratorINS0_10device_ptrIKiEEEESD_PiSE_lNS9_INSA_IiEEEESE_NS0_4lessIiEENS2_23serial_set_intersectionENS5_6detail19lookback_scan_stateIlLb0ELb1EEEEEvT1_T2_T3_T4_T6_T7_T8_T9_PNS0_4pairIT5_SW_EEPSW_T10_NSK_16ordered_block_idIjEE,@function
_ZN6thrust23THRUST_200600_302600_NS11hip_rocprim16__set_operations22lookback_set_op_kernelIN7rocprim17ROCPRIM_400000_NS13kernel_configILj256ELj16ELj4294967295EEELb0ENS0_6detail15normal_iteratorINS0_10device_ptrIKiEEEESD_PiSE_lNS9_INSA_IiEEEESE_NS0_4lessIiEENS2_23serial_set_intersectionENS5_6detail19lookback_scan_stateIlLb0ELb1EEEEEvT1_T2_T3_T4_T6_T7_T8_T9_PNS0_4pairIT5_SW_EEPSW_T10_NSK_16ordered_block_idIjEE: ; @_ZN6thrust23THRUST_200600_302600_NS11hip_rocprim16__set_operations22lookback_set_op_kernelIN7rocprim17ROCPRIM_400000_NS13kernel_configILj256ELj16ELj4294967295EEELb0ENS0_6detail15normal_iteratorINS0_10device_ptrIKiEEEESD_PiSE_lNS9_INSA_IiEEEESE_NS0_4lessIiEENS2_23serial_set_intersectionENS5_6detail19lookback_scan_stateIlLb0ELb1EEEEEvT1_T2_T3_T4_T6_T7_T8_T9_PNS0_4pairIT5_SW_EEPSW_T10_NSK_16ordered_block_idIjEE
; %bb.0:
	s_load_dword s0, s[4:5], 0x64
	s_load_dword s16, s[4:5], 0x58
	s_load_dwordx8 s[8:15], s[4:5], 0x38
	v_bfe_u32 v1, v0, 10, 10
	v_bfe_u32 v2, v0, 20, 10
	s_waitcnt lgkmcnt(0)
	s_lshr_b32 s1, s0, 16
	s_and_b32 s0, s0, 0xffff
	v_mad_u32_u24 v1, v2, s1, v1
	v_and_b32_e32 v16, 0x3ff, v0
	v_mul_lo_u32 v1, v1, s0
	v_sub_u32_e32 v0, 0, v16
	v_cmp_eq_u32_e32 vcc, v1, v0
	s_and_saveexec_b64 s[0:1], vcc
	s_cbranch_execz .LBB23_4
; %bb.1:
	s_mov_b64 s[6:7], exec
	v_mbcnt_lo_u32_b32 v0, s6, 0
	v_mbcnt_hi_u32_b32 v0, s7, v0
	v_cmp_eq_u32_e32 vcc, 0, v0
                                        ; implicit-def: $vgpr1
	s_and_saveexec_b64 s[2:3], vcc
	s_cbranch_execz .LBB23_3
; %bb.2:
	s_bcnt1_i32_b64 s6, s[6:7]
	v_mov_b32_e32 v1, 0
	v_mov_b32_e32 v2, s6
	global_atomic_add v1, v1, v2, s[14:15] glc
.LBB23_3:
	s_or_b64 exec, exec, s[2:3]
	s_waitcnt vmcnt(0)
	v_readfirstlane_b32 s2, v1
	v_add_u32_e32 v0, s2, v0
	v_mov_b32_e32 v1, 0
	ds_write_b32 v1, v0 offset:36864
.LBB23_4:
	s_or_b64 exec, exec, s[0:1]
	v_mov_b32_e32 v8, 0
	s_waitcnt lgkmcnt(0)
	s_barrier
	ds_read_b32 v9, v8 offset:36864
	s_add_i32 s16, s16, -1
	s_waitcnt lgkmcnt(0)
	v_readfirstlane_b32 s14, v9
	s_ashr_i32 s15, s14, 31
	s_lshl_b64 s[0:1], s[14:15], 4
	s_add_u32 s0, s8, s0
	s_addc_u32 s1, s9, s1
	global_load_dwordx4 v[0:3], v8, s[0:1] offset:16
	global_load_dwordx4 v[4:7], v8, s[0:1]
	s_load_dwordx4 s[0:3], s[4:5], 0x0
	s_load_dwordx2 s[8:9], s[4:5], 0x20
	v_cmp_le_i32_e32 vcc, s16, v9
	s_and_b64 vcc, exec, vcc
	s_waitcnt lgkmcnt(0)
	v_mov_b32_e32 v8, s1
	v_mov_b32_e32 v10, s3
	s_waitcnt vmcnt(0)
	v_sub_u32_e32 v20, v0, v4
	v_lshlrev_b64 v[0:1], 2, v[4:5]
	v_add_co_u32_e64 v24, s[0:1], s0, v0
	v_sub_u32_e32 v21, v2, v6
	v_lshlrev_b64 v[2:3], 2, v[6:7]
	v_addc_co_u32_e64 v25, s[0:1], v8, v1, s[0:1]
	v_add_co_u32_e64 v22, s[0:1], s2, v2
	v_addc_co_u32_e64 v23, s[0:1], v10, v3, s[0:1]
	s_mov_b64 s[0:1], -1
	s_cbranch_vccz .LBB23_208
; %bb.5:
	v_add_u32_e32 v17, v21, v20
	v_cmp_lt_i32_e32 vcc, v16, v17
                                        ; implicit-def: $vgpr0_vgpr1_vgpr2_vgpr3_vgpr4_vgpr5_vgpr6_vgpr7_vgpr8_vgpr9_vgpr10_vgpr11_vgpr12_vgpr13_vgpr14_vgpr15
	s_and_saveexec_b64 s[0:1], vcc
	s_cbranch_execz .LBB23_7
; %bb.6:
	v_lshlrev_b32_e32 v0, 2, v16
	v_add_co_u32_e32 v2, vcc, v24, v0
	v_sub_u32_e32 v0, v16, v20
	v_ashrrev_i32_e32 v1, 31, v0
	v_addc_co_u32_e32 v3, vcc, 0, v25, vcc
	v_lshlrev_b64 v[0:1], 2, v[0:1]
	v_add_co_u32_e32 v0, vcc, v22, v0
	v_addc_co_u32_e32 v1, vcc, v23, v1, vcc
	v_cmp_lt_i32_e32 vcc, v16, v20
	v_cndmask_b32_e32 v1, v1, v3, vcc
	v_cndmask_b32_e32 v0, v0, v2, vcc
	global_load_dword v0, v[0:1], off
.LBB23_7:
	s_or_b64 exec, exec, s[0:1]
	v_add_u32_e32 v18, 0x100, v16
	v_cmp_lt_i32_e32 vcc, v18, v17
	s_and_saveexec_b64 s[0:1], vcc
	s_cbranch_execz .LBB23_9
; %bb.8:
	v_lshlrev_b32_e32 v1, 2, v16
	v_add_co_u32_e32 v1, vcc, v24, v1
	v_addc_co_u32_e32 v19, vcc, 0, v25, vcc
	v_ashrrev_i32_e32 v27, 31, v20
	v_sub_co_u32_e32 v26, vcc, v16, v20
	v_subb_co_u32_e32 v27, vcc, 0, v27, vcc
	v_lshlrev_b64 v[26:27], 2, v[26:27]
	v_add_co_u32_e32 v26, vcc, v22, v26
	v_addc_co_u32_e32 v27, vcc, v23, v27, vcc
	v_cmp_lt_i32_e32 vcc, v18, v20
	v_cndmask_b32_e32 v19, v27, v19, vcc
	v_cndmask_b32_e32 v18, v26, v1, vcc
	global_load_dword v1, v[18:19], off offset:1024
.LBB23_9:
	s_or_b64 exec, exec, s[0:1]
	v_add_u32_e32 v18, 0x200, v16
	v_cmp_lt_i32_e32 vcc, v18, v17
	s_and_saveexec_b64 s[0:1], vcc
	s_cbranch_execz .LBB23_11
; %bb.10:
	v_lshlrev_b32_e32 v2, 2, v16
	v_add_co_u32_e32 v2, vcc, v24, v2
	v_addc_co_u32_e32 v19, vcc, 0, v25, vcc
	v_ashrrev_i32_e32 v27, 31, v20
	v_sub_co_u32_e32 v26, vcc, v16, v20
	v_subb_co_u32_e32 v27, vcc, 0, v27, vcc
	v_lshlrev_b64 v[26:27], 2, v[26:27]
	v_add_co_u32_e32 v26, vcc, v22, v26
	v_addc_co_u32_e32 v27, vcc, v23, v27, vcc
	v_cmp_lt_i32_e32 vcc, v18, v20
	v_cndmask_b32_e32 v19, v27, v19, vcc
	v_cndmask_b32_e32 v18, v26, v2, vcc
	global_load_dword v2, v[18:19], off offset:2048
.LBB23_11:
	;; [unrolled: 20-line block ×3, first 2 shown]
	s_or_b64 exec, exec, s[0:1]
	v_or_b32_e32 v18, 0x400, v16
	v_cmp_lt_i32_e32 vcc, v18, v17
	s_and_saveexec_b64 s[0:1], vcc
	s_cbranch_execz .LBB23_15
; %bb.14:
	v_lshlrev_b32_e32 v4, 2, v18
	v_sub_u32_e32 v26, v18, v20
	v_add_co_u32_e32 v4, vcc, v24, v4
	v_ashrrev_i32_e32 v27, 31, v26
	v_addc_co_u32_e32 v19, vcc, 0, v25, vcc
	v_lshlrev_b64 v[26:27], 2, v[26:27]
	v_add_co_u32_e32 v26, vcc, v22, v26
	v_addc_co_u32_e32 v27, vcc, v23, v27, vcc
	v_cmp_lt_i32_e32 vcc, v18, v20
	v_cndmask_b32_e32 v19, v27, v19, vcc
	v_cndmask_b32_e32 v18, v26, v4, vcc
	global_load_dword v4, v[18:19], off
.LBB23_15:
	s_or_b64 exec, exec, s[0:1]
	v_add_u32_e32 v18, 0x500, v16
	v_cmp_lt_i32_e32 vcc, v18, v17
	s_and_saveexec_b64 s[0:1], vcc
	s_cbranch_execz .LBB23_17
; %bb.16:
	v_lshlrev_b32_e32 v5, 2, v18
	v_sub_u32_e32 v26, v18, v20
	v_add_co_u32_e32 v5, vcc, v24, v5
	v_ashrrev_i32_e32 v27, 31, v26
	v_addc_co_u32_e32 v19, vcc, 0, v25, vcc
	v_lshlrev_b64 v[26:27], 2, v[26:27]
	v_add_co_u32_e32 v26, vcc, v22, v26
	v_addc_co_u32_e32 v27, vcc, v23, v27, vcc
	v_cmp_lt_i32_e32 vcc, v18, v20
	v_cndmask_b32_e32 v19, v27, v19, vcc
	v_cndmask_b32_e32 v18, v26, v5, vcc
	global_load_dword v5, v[18:19], off
.LBB23_17:
	s_or_b64 exec, exec, s[0:1]
	v_add_u32_e32 v18, 0x600, v16
	;; [unrolled: 19-line block ×3, first 2 shown]
	v_cmp_lt_i32_e32 vcc, v18, v17
	s_and_saveexec_b64 s[0:1], vcc
	s_cbranch_execz .LBB23_21
; %bb.20:
	v_lshlrev_b32_e32 v7, 2, v18
	v_sub_u32_e32 v26, v18, v20
	v_add_co_u32_e32 v7, vcc, v24, v7
	v_ashrrev_i32_e32 v27, 31, v26
	v_addc_co_u32_e32 v19, vcc, 0, v25, vcc
	v_lshlrev_b64 v[26:27], 2, v[26:27]
	v_add_co_u32_e32 v26, vcc, v22, v26
	v_addc_co_u32_e32 v27, vcc, v23, v27, vcc
	v_cmp_lt_i32_e32 vcc, v18, v20
	v_cndmask_b32_e32 v19, v27, v19, vcc
	v_cndmask_b32_e32 v18, v26, v7, vcc
	global_load_dword v7, v[18:19], off
.LBB23_21:
	s_or_b64 exec, exec, s[0:1]
	v_or_b32_e32 v18, 0x800, v16
	v_cmp_lt_i32_e32 vcc, v18, v17
	s_and_saveexec_b64 s[0:1], vcc
	s_cbranch_execz .LBB23_23
; %bb.22:
	v_lshlrev_b32_e32 v8, 2, v18
	v_sub_u32_e32 v26, v18, v20
	v_add_co_u32_e32 v8, vcc, v24, v8
	v_ashrrev_i32_e32 v27, 31, v26
	v_addc_co_u32_e32 v19, vcc, 0, v25, vcc
	v_lshlrev_b64 v[26:27], 2, v[26:27]
	v_add_co_u32_e32 v26, vcc, v22, v26
	v_addc_co_u32_e32 v27, vcc, v23, v27, vcc
	v_cmp_lt_i32_e32 vcc, v18, v20
	v_cndmask_b32_e32 v19, v27, v19, vcc
	v_cndmask_b32_e32 v18, v26, v8, vcc
	global_load_dword v8, v[18:19], off
.LBB23_23:
	s_or_b64 exec, exec, s[0:1]
	v_add_u32_e32 v18, 0x900, v16
	v_cmp_lt_i32_e32 vcc, v18, v17
	s_and_saveexec_b64 s[0:1], vcc
	s_cbranch_execz .LBB23_25
; %bb.24:
	v_lshlrev_b32_e32 v9, 2, v18
	v_sub_u32_e32 v26, v18, v20
	v_add_co_u32_e32 v9, vcc, v24, v9
	v_ashrrev_i32_e32 v27, 31, v26
	v_addc_co_u32_e32 v19, vcc, 0, v25, vcc
	v_lshlrev_b64 v[26:27], 2, v[26:27]
	v_add_co_u32_e32 v26, vcc, v22, v26
	v_addc_co_u32_e32 v27, vcc, v23, v27, vcc
	v_cmp_lt_i32_e32 vcc, v18, v20
	v_cndmask_b32_e32 v19, v27, v19, vcc
	v_cndmask_b32_e32 v18, v26, v9, vcc
	global_load_dword v9, v[18:19], off
.LBB23_25:
	s_or_b64 exec, exec, s[0:1]
	v_add_u32_e32 v18, 0xa00, v16
	v_cmp_lt_i32_e32 vcc, v18, v17
	s_and_saveexec_b64 s[0:1], vcc
	s_cbranch_execz .LBB23_27
; %bb.26:
	v_lshlrev_b32_e32 v10, 2, v18
	v_sub_u32_e32 v26, v18, v20
	v_add_co_u32_e32 v10, vcc, v24, v10
	v_ashrrev_i32_e32 v27, 31, v26
	v_addc_co_u32_e32 v19, vcc, 0, v25, vcc
	v_lshlrev_b64 v[26:27], 2, v[26:27]
	v_add_co_u32_e32 v26, vcc, v22, v26
	v_addc_co_u32_e32 v27, vcc, v23, v27, vcc
	v_cmp_lt_i32_e32 vcc, v18, v20
	v_cndmask_b32_e32 v19, v27, v19, vcc
	v_cndmask_b32_e32 v18, v26, v10, vcc
	global_load_dword v10, v[18:19], off
.LBB23_27:
	s_or_b64 exec, exec, s[0:1]
	v_add_u32_e32 v18, 0xb00, v16
	v_cmp_lt_i32_e32 vcc, v18, v17
	s_and_saveexec_b64 s[0:1], vcc
	s_cbranch_execz .LBB23_29
; %bb.28:
	v_lshlrev_b32_e32 v11, 2, v18
	v_sub_u32_e32 v26, v18, v20
	v_add_co_u32_e32 v11, vcc, v24, v11
	v_ashrrev_i32_e32 v27, 31, v26
	v_addc_co_u32_e32 v19, vcc, 0, v25, vcc
	v_lshlrev_b64 v[26:27], 2, v[26:27]
	v_add_co_u32_e32 v26, vcc, v22, v26
	v_addc_co_u32_e32 v27, vcc, v23, v27, vcc
	v_cmp_lt_i32_e32 vcc, v18, v20
	v_cndmask_b32_e32 v19, v27, v19, vcc
	v_cndmask_b32_e32 v18, v26, v11, vcc
	global_load_dword v11, v[18:19], off
.LBB23_29:
	s_or_b64 exec, exec, s[0:1]
	v_or_b32_e32 v18, 0xc00, v16
	v_cmp_lt_i32_e32 vcc, v18, v17
	s_and_saveexec_b64 s[0:1], vcc
	s_cbranch_execz .LBB23_31
; %bb.30:
	v_lshlrev_b32_e32 v12, 2, v18
	v_sub_u32_e32 v26, v18, v20
	v_add_co_u32_e32 v12, vcc, v24, v12
	v_ashrrev_i32_e32 v27, 31, v26
	v_addc_co_u32_e32 v19, vcc, 0, v25, vcc
	v_lshlrev_b64 v[26:27], 2, v[26:27]
	v_add_co_u32_e32 v26, vcc, v22, v26
	v_addc_co_u32_e32 v27, vcc, v23, v27, vcc
	v_cmp_lt_i32_e32 vcc, v18, v20
	v_cndmask_b32_e32 v19, v27, v19, vcc
	v_cndmask_b32_e32 v18, v26, v12, vcc
	global_load_dword v12, v[18:19], off
.LBB23_31:
	s_or_b64 exec, exec, s[0:1]
	v_add_u32_e32 v18, 0xd00, v16
	v_cmp_lt_i32_e32 vcc, v18, v17
	s_and_saveexec_b64 s[0:1], vcc
	s_cbranch_execz .LBB23_33
; %bb.32:
	v_lshlrev_b32_e32 v13, 2, v18
	v_sub_u32_e32 v26, v18, v20
	v_add_co_u32_e32 v13, vcc, v24, v13
	v_ashrrev_i32_e32 v27, 31, v26
	v_addc_co_u32_e32 v19, vcc, 0, v25, vcc
	v_lshlrev_b64 v[26:27], 2, v[26:27]
	v_add_co_u32_e32 v26, vcc, v22, v26
	v_addc_co_u32_e32 v27, vcc, v23, v27, vcc
	v_cmp_lt_i32_e32 vcc, v18, v20
	v_cndmask_b32_e32 v19, v27, v19, vcc
	v_cndmask_b32_e32 v18, v26, v13, vcc
	global_load_dword v13, v[18:19], off
.LBB23_33:
	s_or_b64 exec, exec, s[0:1]
	v_add_u32_e32 v18, 0xe00, v16
	;; [unrolled: 19-line block ×3, first 2 shown]
	v_cmp_lt_i32_e32 vcc, v18, v17
	s_and_saveexec_b64 s[0:1], vcc
	s_cbranch_execz .LBB23_37
; %bb.36:
	v_lshlrev_b32_e32 v15, 2, v18
	v_sub_u32_e32 v26, v18, v20
	v_add_co_u32_e32 v15, vcc, v24, v15
	v_ashrrev_i32_e32 v27, 31, v26
	v_addc_co_u32_e32 v19, vcc, 0, v25, vcc
	v_lshlrev_b64 v[26:27], 2, v[26:27]
	v_add_co_u32_e32 v26, vcc, v22, v26
	v_addc_co_u32_e32 v27, vcc, v23, v27, vcc
	v_cmp_lt_i32_e32 vcc, v18, v20
	v_cndmask_b32_e32 v19, v27, v19, vcc
	v_cndmask_b32_e32 v18, v26, v15, vcc
	global_load_dword v15, v[18:19], off
.LBB23_37:
	s_or_b64 exec, exec, s[0:1]
	v_lshlrev_b32_e32 v18, 2, v16
	s_waitcnt vmcnt(0)
	ds_write2st64_b32 v18, v0, v1 offset0:76 offset1:80
	ds_write2st64_b32 v18, v2, v3 offset0:84 offset1:88
	;; [unrolled: 1-line block ×8, first 2 shown]
	v_lshlrev_b32_e32 v0, 4, v16
	v_min_i32_e32 v1, v17, v0
	v_lshlrev_b32_e32 v0, 2, v20
	v_add_u32_e32 v4, 0x4800, v0
	v_sub_u32_e32 v0, v1, v21
	v_max_i32_e32 v0, 0, v0
	v_min_i32_e32 v2, v20, v1
	v_cmp_lt_i32_e32 vcc, v0, v2
	s_waitcnt lgkmcnt(0)
	s_barrier
	s_and_saveexec_b64 s[0:1], vcc
	s_cbranch_execz .LBB23_41
; %bb.38:
	v_lshl_add_u32 v3, v1, 2, v4
	v_add_u32_e32 v3, 0x400, v3
	s_mov_b64 s[2:3], 0
.LBB23_39:                              ; =>This Inner Loop Header: Depth=1
	v_add_u32_e32 v5, v2, v0
	v_ashrrev_i32_e32 v5, 1, v5
	v_not_b32_e32 v7, v5
	v_lshlrev_b32_e32 v6, 2, v5
	v_lshl_add_u32 v7, v7, 2, v3
	ds_read_b32 v6, v6 offset:19456
	ds_read_b32 v7, v7
	v_add_u32_e32 v8, 1, v5
	s_waitcnt lgkmcnt(0)
	v_cmp_lt_i32_e32 vcc, v7, v6
	v_cndmask_b32_e32 v2, v2, v5, vcc
	v_cndmask_b32_e32 v0, v8, v0, vcc
	v_cmp_ge_i32_e32 vcc, v0, v2
	s_or_b64 s[2:3], vcc, s[2:3]
	s_andn2_b64 exec, exec, s[2:3]
	s_cbranch_execnz .LBB23_39
; %bb.40:
	s_or_b64 exec, exec, s[2:3]
.LBB23_41:
	s_or_b64 exec, exec, s[0:1]
	v_sub_u32_e32 v5, v1, v0
	v_add_u32_e32 v17, 0x4800, v18
	v_add_u32_e32 v26, 0x4c00, v18
	v_cmp_lt_i32_e32 vcc, v5, v21
	v_mov_b32_e32 v3, 0
	s_and_saveexec_b64 s[2:3], vcc
	s_cbranch_execz .LBB23_71
; %bb.42:
	v_lshl_add_u32 v6, v5, 2, v4
	ds_read_b32 v3, v6 offset:1024
	v_cmp_lt_i32_e32 vcc, 0, v0
	v_mov_b32_e32 v2, 0
	v_mov_b32_e32 v7, v0
	s_and_saveexec_b64 s[0:1], vcc
	s_cbranch_execnz .LBB23_47
; %bb.43:
	s_or_b64 exec, exec, s[0:1]
	v_cmp_lt_i32_e32 vcc, v2, v7
	s_and_saveexec_b64 s[0:1], vcc
	s_cbranch_execnz .LBB23_48
.LBB23_44:
	s_or_b64 exec, exec, s[0:1]
	v_cmp_lt_i32_e32 vcc, v2, v7
	s_and_saveexec_b64 s[0:1], vcc
	s_cbranch_execnz .LBB23_49
.LBB23_45:
	s_or_b64 exec, exec, s[0:1]
	v_cmp_lt_i32_e32 vcc, v2, v7
	s_and_saveexec_b64 s[0:1], vcc
	s_cbranch_execnz .LBB23_50
.LBB23_46:
	s_or_b64 exec, exec, s[0:1]
	v_cmp_lt_i32_e32 vcc, v2, v7
	s_and_saveexec_b64 s[0:1], vcc
	s_cbranch_execnz .LBB23_51
	s_branch .LBB23_54
.LBB23_47:
	s_movk_i32 s4, 0x1ff
	v_mul_lo_u32 v2, v0, s4
	v_ashrrev_i32_e32 v7, 9, v2
	v_lshlrev_b32_e32 v2, 2, v7
	ds_read_b32 v2, v2 offset:19456
	v_add_u32_e32 v8, 1, v7
	s_waitcnt lgkmcnt(0)
	v_cmp_lt_i32_e32 vcc, v2, v3
	v_cndmask_b32_e32 v2, 0, v8, vcc
	v_cndmask_b32_e32 v7, v7, v0, vcc
	s_or_b64 exec, exec, s[0:1]
	v_cmp_lt_i32_e32 vcc, v2, v7
	s_and_saveexec_b64 s[0:1], vcc
	s_cbranch_execz .LBB23_44
.LBB23_48:
	v_sub_u32_e32 v8, v2, v7
	v_lshl_add_u32 v8, v7, 7, v8
	v_ashrrev_i32_e32 v8, 7, v8
	v_lshlrev_b32_e32 v9, 2, v8
	ds_read_b32 v9, v9 offset:19456
	v_add_u32_e32 v10, 1, v8
	s_waitcnt lgkmcnt(0)
	v_cmp_lt_i32_e32 vcc, v9, v3
	v_cndmask_b32_e32 v2, v2, v10, vcc
	v_cndmask_b32_e32 v7, v8, v7, vcc
	s_or_b64 exec, exec, s[0:1]
	v_cmp_lt_i32_e32 vcc, v2, v7
	s_and_saveexec_b64 s[0:1], vcc
	s_cbranch_execz .LBB23_45
.LBB23_49:
	v_sub_u32_e32 v8, v2, v7
	v_lshl_add_u32 v8, v7, 5, v8
	v_ashrrev_i32_e32 v8, 5, v8
	v_lshlrev_b32_e32 v9, 2, v8
	ds_read_b32 v9, v9 offset:19456
	v_add_u32_e32 v10, 1, v8
	s_waitcnt lgkmcnt(0)
	v_cmp_lt_i32_e32 vcc, v9, v3
	v_cndmask_b32_e32 v2, v2, v10, vcc
	v_cndmask_b32_e32 v7, v8, v7, vcc
	s_or_b64 exec, exec, s[0:1]
	v_cmp_lt_i32_e32 vcc, v2, v7
	s_and_saveexec_b64 s[0:1], vcc
	s_cbranch_execz .LBB23_46
.LBB23_50:
	v_sub_u32_e32 v8, v2, v7
	v_lshl_add_u32 v8, v7, 4, v8
	v_ashrrev_i32_e32 v8, 4, v8
	v_lshlrev_b32_e32 v9, 2, v8
	ds_read_b32 v9, v9 offset:19456
	v_add_u32_e32 v10, 1, v8
	s_waitcnt lgkmcnt(0)
	v_cmp_lt_i32_e32 vcc, v9, v3
	v_cndmask_b32_e32 v2, v2, v10, vcc
	v_cndmask_b32_e32 v7, v8, v7, vcc
	s_or_b64 exec, exec, s[0:1]
	v_cmp_lt_i32_e32 vcc, v2, v7
	s_and_saveexec_b64 s[0:1], vcc
	s_cbranch_execz .LBB23_54
.LBB23_51:
	s_mov_b64 s[4:5], 0
.LBB23_52:                              ; =>This Inner Loop Header: Depth=1
	v_sub_u32_e32 v8, v2, v7
	v_lshl_add_u32 v8, v7, 1, v8
	v_ashrrev_i32_e32 v8, 1, v8
	v_lshlrev_b32_e32 v9, 2, v8
	ds_read_b32 v9, v9 offset:19456
	v_add_u32_e32 v10, 1, v8
	s_waitcnt lgkmcnt(0)
	v_cmp_lt_i32_e32 vcc, v9, v3
	v_cndmask_b32_e32 v2, v2, v10, vcc
	v_cndmask_b32_e32 v7, v8, v7, vcc
	v_cmp_ge_i32_e32 vcc, v2, v7
	s_or_b64 s[4:5], vcc, s[4:5]
	s_andn2_b64 exec, exec, s[4:5]
	s_cbranch_execnz .LBB23_52
; %bb.53:
	s_or_b64 exec, exec, s[4:5]
.LBB23_54:
	s_or_b64 exec, exec, s[0:1]
	v_add_u32_e32 v6, 0x400, v6
	v_cmp_lt_i32_e32 vcc, 0, v5
	v_mov_b32_e32 v7, 0
	v_mov_b32_e32 v8, v5
	s_and_saveexec_b64 s[0:1], vcc
	s_cbranch_execnz .LBB23_59
; %bb.55:
	s_or_b64 exec, exec, s[0:1]
	v_cmp_lt_i32_e32 vcc, v7, v8
	s_and_saveexec_b64 s[0:1], vcc
	s_cbranch_execnz .LBB23_60
.LBB23_56:
	s_or_b64 exec, exec, s[0:1]
	v_cmp_lt_i32_e32 vcc, v7, v8
	s_and_saveexec_b64 s[0:1], vcc
	s_cbranch_execnz .LBB23_61
.LBB23_57:
	s_or_b64 exec, exec, s[0:1]
	v_cmp_lt_i32_e32 vcc, v7, v8
	s_and_saveexec_b64 s[0:1], vcc
	s_cbranch_execnz .LBB23_62
.LBB23_58:
	s_or_b64 exec, exec, s[0:1]
	v_cmp_lt_i32_e32 vcc, v7, v8
	s_and_saveexec_b64 s[0:1], vcc
	s_cbranch_execnz .LBB23_63
	s_branch .LBB23_66
.LBB23_59:
	s_movk_i32 s4, 0x1ff
	v_mul_lo_u32 v7, v5, s4
	v_ashrrev_i32_e32 v8, 9, v7
	v_lshl_add_u32 v7, v8, 2, v4
	ds_read_b32 v7, v7 offset:1024
	v_add_u32_e32 v9, 1, v8
	s_waitcnt lgkmcnt(0)
	v_cmp_lt_i32_e32 vcc, v7, v3
	v_cndmask_b32_e32 v7, 0, v9, vcc
	v_cndmask_b32_e32 v8, v8, v5, vcc
	s_or_b64 exec, exec, s[0:1]
	v_cmp_lt_i32_e32 vcc, v7, v8
	s_and_saveexec_b64 s[0:1], vcc
	s_cbranch_execz .LBB23_56
.LBB23_60:
	v_sub_u32_e32 v9, v7, v8
	v_lshl_add_u32 v9, v8, 7, v9
	v_ashrrev_i32_e32 v9, 7, v9
	v_lshl_add_u32 v10, v9, 2, v4
	ds_read_b32 v10, v10 offset:1024
	v_add_u32_e32 v11, 1, v9
	s_waitcnt lgkmcnt(0)
	v_cmp_lt_i32_e32 vcc, v10, v3
	v_cndmask_b32_e32 v7, v7, v11, vcc
	v_cndmask_b32_e32 v8, v9, v8, vcc
	s_or_b64 exec, exec, s[0:1]
	v_cmp_lt_i32_e32 vcc, v7, v8
	s_and_saveexec_b64 s[0:1], vcc
	s_cbranch_execz .LBB23_57
.LBB23_61:
	v_sub_u32_e32 v9, v7, v8
	v_lshl_add_u32 v9, v8, 5, v9
	v_ashrrev_i32_e32 v9, 5, v9
	v_lshl_add_u32 v10, v9, 2, v4
	ds_read_b32 v10, v10 offset:1024
	v_add_u32_e32 v11, 1, v9
	s_waitcnt lgkmcnt(0)
	v_cmp_lt_i32_e32 vcc, v10, v3
	v_cndmask_b32_e32 v7, v7, v11, vcc
	v_cndmask_b32_e32 v8, v9, v8, vcc
	s_or_b64 exec, exec, s[0:1]
	v_cmp_lt_i32_e32 vcc, v7, v8
	s_and_saveexec_b64 s[0:1], vcc
	s_cbranch_execz .LBB23_58
.LBB23_62:
	v_sub_u32_e32 v9, v7, v8
	v_lshl_add_u32 v9, v8, 4, v9
	v_ashrrev_i32_e32 v9, 4, v9
	v_lshl_add_u32 v10, v9, 2, v4
	ds_read_b32 v10, v10 offset:1024
	v_add_u32_e32 v11, 1, v9
	s_waitcnt lgkmcnt(0)
	v_cmp_lt_i32_e32 vcc, v10, v3
	v_cndmask_b32_e32 v7, v7, v11, vcc
	v_cndmask_b32_e32 v8, v9, v8, vcc
	s_or_b64 exec, exec, s[0:1]
	v_cmp_lt_i32_e32 vcc, v7, v8
	s_and_saveexec_b64 s[0:1], vcc
	s_cbranch_execz .LBB23_66
.LBB23_63:
	v_add_u32_e32 v4, 0x400, v4
	s_mov_b64 s[4:5], 0
.LBB23_64:                              ; =>This Inner Loop Header: Depth=1
	v_sub_u32_e32 v9, v7, v8
	v_lshl_add_u32 v9, v8, 1, v9
	v_ashrrev_i32_e32 v9, 1, v9
	v_lshl_add_u32 v10, v9, 2, v4
	ds_read_b32 v10, v10
	v_add_u32_e32 v11, 1, v9
	s_waitcnt lgkmcnt(0)
	v_cmp_lt_i32_e32 vcc, v10, v3
	v_cndmask_b32_e32 v7, v7, v11, vcc
	v_cndmask_b32_e32 v8, v9, v8, vcc
	v_cmp_ge_i32_e32 vcc, v7, v8
	s_or_b64 s[4:5], vcc, s[4:5]
	s_andn2_b64 exec, exec, s[4:5]
	s_cbranch_execnz .LBB23_64
; %bb.65:
	s_or_b64 exec, exec, s[4:5]
.LBB23_66:
	s_or_b64 exec, exec, s[0:1]
	v_sub_u32_e32 v0, v0, v2
	v_sub_u32_e32 v8, v5, v7
	v_add_u32_e32 v4, v8, v0
	v_ashrrev_i32_e32 v0, 1, v4
	v_max_i32_e32 v0, v0, v8
	v_add3_u32 v7, v7, v0, 1
	v_min_i32_e32 v7, v7, v21
	v_sub_u32_e32 v7, v7, v5
	v_cmp_lt_i32_e32 vcc, 0, v7
	v_mov_b32_e32 v5, 0
	s_and_saveexec_b64 s[0:1], vcc
	s_cbranch_execz .LBB23_70
; %bb.67:
	s_mov_b64 s[4:5], 0
	v_mov_b32_e32 v5, 0
.LBB23_68:                              ; =>This Inner Loop Header: Depth=1
	v_add_u32_e32 v9, v5, v7
	v_ashrrev_i32_e32 v9, 1, v9
	v_lshl_add_u32 v10, v9, 2, v6
	ds_read_b32 v10, v10
	v_add_u32_e32 v11, 1, v9
	s_waitcnt lgkmcnt(0)
	v_cmp_gt_i32_e32 vcc, v10, v3
	v_cndmask_b32_e32 v5, v11, v5, vcc
	v_cndmask_b32_e32 v7, v7, v9, vcc
	v_cmp_ge_i32_e32 vcc, v5, v7
	s_or_b64 s[4:5], vcc, s[4:5]
	s_andn2_b64 exec, exec, s[4:5]
	s_cbranch_execnz .LBB23_68
; %bb.69:
	s_or_b64 exec, exec, s[4:5]
.LBB23_70:
	s_or_b64 exec, exec, s[0:1]
	s_waitcnt lgkmcnt(0)
	v_add_u32_e32 v3, v5, v8
	v_min_i32_e32 v5, v3, v0
	v_sub_u32_e32 v4, v4, v5
	v_add_u32_e32 v5, 1, v5
	v_cmp_eq_u32_e32 vcc, v4, v5
	v_cmp_lt_i32_e64 s[0:1], v0, v3
	s_and_b64 s[0:1], s[0:1], vcc
	v_cndmask_b32_e64 v3, 0, 1, s[0:1]
	v_add_u32_e32 v0, v4, v2
.LBB23_71:
	s_or_b64 exec, exec, s[2:3]
	v_add_u32_e32 v1, v3, v1
	v_sub_u32_e32 v1, v1, v0
	v_lshlrev_b32_e32 v2, 16, v20
	v_or_b32_e32 v2, v2, v21
	v_lshl_or_b32 v3, v0, 16, v1
	v_cmp_eq_u32_e64 s[0:1], 0, v16
	v_cndmask_b32_e64 v2, v3, v2, s[0:1]
	v_add_u32_e32 v3, -1, v16
	v_mov_b32_e32 v4, 0xff
	v_cndmask_b32_e64 v3, v3, v4, s[0:1]
	v_lshlrev_b32_e32 v3, 2, v3
	ds_write_b32 v3, v2 offset:18432
	v_add_u32_e32 v3, v1, v20
	v_lshlrev_b32_e32 v6, 2, v0
	s_waitcnt lgkmcnt(0)
	s_barrier
	v_lshlrev_b32_e32 v7, 2, v3
	ds_read_b32 v28, v6 offset:19456
	ds_read_b32 v4, v7 offset:19456
	ds_read_b32 v2, v17
	v_mov_b32_e32 v5, v0
	s_waitcnt lgkmcnt(2)
	v_mov_b32_e32 v27, v28
	s_waitcnt lgkmcnt(1)
	v_cmp_ge_i32_e32 vcc, v4, v28
	s_and_saveexec_b64 s[2:3], vcc
	s_cbranch_execz .LBB23_73
; %bb.72:
	ds_read_b32 v27, v6 offset:19460
	v_add_u32_e32 v5, 1, v0
.LBB23_73:
	s_or_b64 exec, exec, s[2:3]
	v_cmp_ge_i32_e32 vcc, v28, v4
	v_mov_b32_e32 v6, v4
	s_and_saveexec_b64 s[2:3], vcc
	s_cbranch_execz .LBB23_75
; %bb.74:
	ds_read_b32 v6, v7 offset:19460
	v_add_u32_e32 v3, 1, v3
.LBB23_75:
	s_or_b64 exec, exec, s[2:3]
	s_waitcnt lgkmcnt(0)
	v_cmp_ge_i32_e32 vcc, v6, v27
	v_mov_b32_e32 v29, v27
	v_mov_b32_e32 v7, v5
	s_and_saveexec_b64 s[2:3], vcc
	s_cbranch_execz .LBB23_77
; %bb.76:
	v_lshlrev_b32_e32 v7, 2, v5
	ds_read_b32 v29, v7 offset:19460
	v_add_u32_e32 v7, 1, v5
.LBB23_77:
	s_or_b64 exec, exec, s[2:3]
	v_cmp_ge_i32_e32 vcc, v27, v6
	v_mov_b32_e32 v8, v6
	v_mov_b32_e32 v9, v3
	s_and_saveexec_b64 s[2:3], vcc
	s_cbranch_execz .LBB23_79
; %bb.78:
	v_lshlrev_b32_e32 v8, 2, v3
	ds_read_b32 v8, v8 offset:19460
	v_add_u32_e32 v9, 1, v3
.LBB23_79:
	s_or_b64 exec, exec, s[2:3]
	s_waitcnt lgkmcnt(0)
	v_cmp_ge_i32_e32 vcc, v8, v29
	v_mov_b32_e32 v30, v29
	v_mov_b32_e32 v10, v7
	s_and_saveexec_b64 s[2:3], vcc
	s_cbranch_execz .LBB23_81
; %bb.80:
	v_lshlrev_b32_e32 v10, 2, v7
	ds_read_b32 v30, v10 offset:19460
	v_add_u32_e32 v10, 1, v7
.LBB23_81:
	s_or_b64 exec, exec, s[2:3]
	v_cmp_ge_i32_e32 vcc, v29, v8
	v_mov_b32_e32 v11, v8
	v_mov_b32_e32 v12, v9
	s_and_saveexec_b64 s[2:3], vcc
	s_cbranch_execz .LBB23_83
; %bb.82:
	v_lshlrev_b32_e32 v11, 2, v9
	ds_read_b32 v11, v11 offset:19460
	v_add_u32_e32 v12, 1, v9
.LBB23_83:
	s_or_b64 exec, exec, s[2:3]
	s_waitcnt lgkmcnt(0)
	v_cmp_ge_i32_e32 vcc, v11, v30
	v_mov_b32_e32 v31, v30
	v_mov_b32_e32 v13, v10
	s_and_saveexec_b64 s[2:3], vcc
	s_cbranch_execz .LBB23_85
; %bb.84:
	v_lshlrev_b32_e32 v13, 2, v10
	ds_read_b32 v31, v13 offset:19460
	v_add_u32_e32 v13, 1, v10
.LBB23_85:
	s_or_b64 exec, exec, s[2:3]
	v_cmp_ge_i32_e32 vcc, v30, v11
	v_mov_b32_e32 v14, v11
	v_mov_b32_e32 v15, v12
	s_and_saveexec_b64 s[2:3], vcc
	s_cbranch_execz .LBB23_87
; %bb.86:
	v_lshlrev_b32_e32 v14, 2, v12
	ds_read_b32 v14, v14 offset:19460
	v_add_u32_e32 v15, 1, v12
.LBB23_87:
	s_or_b64 exec, exec, s[2:3]
	s_waitcnt lgkmcnt(0)
	v_cmp_ge_i32_e32 vcc, v14, v31
	v_mov_b32_e32 v32, v31
	v_mov_b32_e32 v18, v13
	s_and_saveexec_b64 s[2:3], vcc
	s_cbranch_execz .LBB23_89
; %bb.88:
	v_lshlrev_b32_e32 v18, 2, v13
	ds_read_b32 v32, v18 offset:19460
	v_add_u32_e32 v18, 1, v13
.LBB23_89:
	s_or_b64 exec, exec, s[2:3]
	v_cmp_ge_i32_e32 vcc, v31, v14
	v_mov_b32_e32 v19, v14
	v_mov_b32_e32 v43, v15
	s_and_saveexec_b64 s[2:3], vcc
	s_cbranch_execz .LBB23_91
; %bb.90:
	v_lshlrev_b32_e32 v19, 2, v15
	ds_read_b32 v19, v19 offset:19460
	v_add_u32_e32 v43, 1, v15
.LBB23_91:
	s_or_b64 exec, exec, s[2:3]
	s_waitcnt lgkmcnt(0)
	v_cmp_ge_i32_e32 vcc, v19, v32
	v_mov_b32_e32 v33, v32
	v_mov_b32_e32 v44, v18
	s_and_saveexec_b64 s[2:3], vcc
	s_cbranch_execz .LBB23_93
; %bb.92:
	v_lshlrev_b32_e32 v33, 2, v18
	ds_read_b32 v33, v33 offset:19460
	v_add_u32_e32 v44, 1, v18
.LBB23_93:
	s_or_b64 exec, exec, s[2:3]
	v_cmp_ge_i32_e32 vcc, v32, v19
	v_mov_b32_e32 v45, v19
	v_mov_b32_e32 v46, v43
	s_and_saveexec_b64 s[2:3], vcc
	s_cbranch_execz .LBB23_95
; %bb.94:
	v_lshlrev_b32_e32 v34, 2, v43
	ds_read_b32 v45, v34 offset:19460
	v_add_u32_e32 v46, 1, v43
.LBB23_95:
	s_or_b64 exec, exec, s[2:3]
	s_waitcnt lgkmcnt(0)
	v_cmp_ge_i32_e32 vcc, v45, v33
	v_mov_b32_e32 v34, v33
	v_mov_b32_e32 v47, v44
	s_and_saveexec_b64 s[2:3], vcc
	s_cbranch_execz .LBB23_97
; %bb.96:
	v_lshlrev_b32_e32 v34, 2, v44
	ds_read_b32 v34, v34 offset:19460
	v_add_u32_e32 v47, 1, v44
.LBB23_97:
	s_or_b64 exec, exec, s[2:3]
	v_cmp_ge_i32_e32 vcc, v33, v45
	v_mov_b32_e32 v48, v45
	v_mov_b32_e32 v49, v46
	s_and_saveexec_b64 s[2:3], vcc
	s_cbranch_execz .LBB23_99
; %bb.98:
	v_lshlrev_b32_e32 v35, 2, v46
	ds_read_b32 v48, v35 offset:19460
	v_add_u32_e32 v49, 1, v46
.LBB23_99:
	s_or_b64 exec, exec, s[2:3]
	s_waitcnt lgkmcnt(0)
	v_cmp_ge_i32_e32 vcc, v48, v34
	v_mov_b32_e32 v35, v34
	v_mov_b32_e32 v50, v47
	s_and_saveexec_b64 s[2:3], vcc
	s_cbranch_execz .LBB23_101
; %bb.100:
	v_lshlrev_b32_e32 v35, 2, v47
	ds_read_b32 v35, v35 offset:19460
	v_add_u32_e32 v50, 1, v47
.LBB23_101:
	s_or_b64 exec, exec, s[2:3]
	v_cmp_ge_i32_e32 vcc, v34, v48
	v_mov_b32_e32 v51, v48
	v_mov_b32_e32 v52, v49
	s_and_saveexec_b64 s[2:3], vcc
	s_cbranch_execz .LBB23_103
; %bb.102:
	v_lshlrev_b32_e32 v36, 2, v49
	ds_read_b32 v51, v36 offset:19460
	v_add_u32_e32 v52, 1, v49
.LBB23_103:
	s_or_b64 exec, exec, s[2:3]
	s_waitcnt lgkmcnt(0)
	v_cmp_ge_i32_e32 vcc, v51, v35
	v_mov_b32_e32 v36, v35
	v_mov_b32_e32 v53, v50
	s_and_saveexec_b64 s[2:3], vcc
	s_cbranch_execz .LBB23_105
; %bb.104:
	v_lshlrev_b32_e32 v36, 2, v50
	ds_read_b32 v36, v36 offset:19460
	v_add_u32_e32 v53, 1, v50
.LBB23_105:
	s_or_b64 exec, exec, s[2:3]
	v_cmp_ge_i32_e32 vcc, v35, v51
	v_mov_b32_e32 v54, v51
	v_mov_b32_e32 v55, v52
	s_and_saveexec_b64 s[2:3], vcc
	s_cbranch_execz .LBB23_107
; %bb.106:
	v_lshlrev_b32_e32 v37, 2, v52
	ds_read_b32 v54, v37 offset:19460
	v_add_u32_e32 v55, 1, v52
.LBB23_107:
	s_or_b64 exec, exec, s[2:3]
	s_waitcnt lgkmcnt(0)
	v_cmp_ge_i32_e32 vcc, v54, v36
	v_mov_b32_e32 v37, v36
	v_mov_b32_e32 v56, v53
	s_and_saveexec_b64 s[2:3], vcc
	s_cbranch_execz .LBB23_109
; %bb.108:
	v_lshlrev_b32_e32 v37, 2, v53
	ds_read_b32 v37, v37 offset:19460
	v_add_u32_e32 v56, 1, v53
.LBB23_109:
	s_or_b64 exec, exec, s[2:3]
	v_cmp_ge_i32_e32 vcc, v36, v54
	v_mov_b32_e32 v57, v54
	v_mov_b32_e32 v58, v55
	s_and_saveexec_b64 s[2:3], vcc
	s_cbranch_execz .LBB23_111
; %bb.110:
	v_lshlrev_b32_e32 v38, 2, v55
	ds_read_b32 v57, v38 offset:19460
	v_add_u32_e32 v58, 1, v55
.LBB23_111:
	s_or_b64 exec, exec, s[2:3]
	s_waitcnt lgkmcnt(0)
	v_cmp_ge_i32_e32 vcc, v57, v37
	v_mov_b32_e32 v38, v37
	v_mov_b32_e32 v59, v56
	s_and_saveexec_b64 s[2:3], vcc
	s_cbranch_execz .LBB23_113
; %bb.112:
	v_lshlrev_b32_e32 v38, 2, v56
	ds_read_b32 v38, v38 offset:19460
	v_add_u32_e32 v59, 1, v56
.LBB23_113:
	s_or_b64 exec, exec, s[2:3]
	v_cmp_ge_i32_e32 vcc, v37, v57
	v_mov_b32_e32 v60, v57
	v_mov_b32_e32 v61, v58
	s_and_saveexec_b64 s[2:3], vcc
	s_cbranch_execz .LBB23_115
; %bb.114:
	v_lshlrev_b32_e32 v39, 2, v58
	ds_read_b32 v60, v39 offset:19460
	v_add_u32_e32 v61, 1, v58
.LBB23_115:
	s_or_b64 exec, exec, s[2:3]
	s_waitcnt lgkmcnt(0)
	v_cmp_ge_i32_e32 vcc, v60, v38
	v_mov_b32_e32 v39, v38
	v_mov_b32_e32 v62, v59
	s_and_saveexec_b64 s[2:3], vcc
	s_cbranch_execz .LBB23_117
; %bb.116:
	v_lshlrev_b32_e32 v39, 2, v59
	ds_read_b32 v39, v39 offset:19460
	v_add_u32_e32 v62, 1, v59
.LBB23_117:
	s_or_b64 exec, exec, s[2:3]
	v_cmp_ge_i32_e32 vcc, v38, v60
	v_mov_b32_e32 v63, v60
	v_mov_b32_e32 v64, v61
	s_and_saveexec_b64 s[2:3], vcc
	s_cbranch_execz .LBB23_119
; %bb.118:
	v_lshlrev_b32_e32 v40, 2, v61
	ds_read_b32 v63, v40 offset:19460
	v_add_u32_e32 v64, 1, v61
.LBB23_119:
	s_or_b64 exec, exec, s[2:3]
	s_waitcnt lgkmcnt(0)
	v_cmp_ge_i32_e32 vcc, v63, v39
	v_mov_b32_e32 v40, v39
	v_mov_b32_e32 v65, v62
	s_and_saveexec_b64 s[2:3], vcc
	s_cbranch_execz .LBB23_121
; %bb.120:
	v_lshlrev_b32_e32 v40, 2, v62
	ds_read_b32 v40, v40 offset:19460
	v_add_u32_e32 v65, 1, v62
.LBB23_121:
	s_or_b64 exec, exec, s[2:3]
	v_cmp_ge_i32_e32 vcc, v39, v63
	v_mov_b32_e32 v66, v63
	v_mov_b32_e32 v67, v64
	s_and_saveexec_b64 s[2:3], vcc
	s_cbranch_execz .LBB23_123
; %bb.122:
	v_lshlrev_b32_e32 v41, 2, v64
	ds_read_b32 v66, v41 offset:19460
	v_add_u32_e32 v67, 1, v64
.LBB23_123:
	s_or_b64 exec, exec, s[2:3]
	s_waitcnt lgkmcnt(0)
	v_cmp_ge_i32_e32 vcc, v66, v40
	v_mov_b32_e32 v41, v40
	v_mov_b32_e32 v68, v65
	s_and_saveexec_b64 s[2:3], vcc
	s_cbranch_execz .LBB23_125
; %bb.124:
	v_lshlrev_b32_e32 v41, 2, v65
	ds_read_b32 v41, v41 offset:19460
	v_add_u32_e32 v68, 1, v65
.LBB23_125:
	s_or_b64 exec, exec, s[2:3]
	v_cmp_ge_i32_e32 vcc, v40, v66
	v_mov_b32_e32 v69, v66
	v_mov_b32_e32 v70, v67
	s_and_saveexec_b64 s[2:3], vcc
	s_cbranch_execz .LBB23_127
; %bb.126:
	v_lshlrev_b32_e32 v42, 2, v67
	ds_read_b32 v69, v42 offset:19460
	v_add_u32_e32 v70, 1, v67
.LBB23_127:
	s_or_b64 exec, exec, s[2:3]
	s_waitcnt lgkmcnt(0)
	v_cmp_ge_i32_e32 vcc, v69, v41
	v_mov_b32_e32 v42, v41
	v_mov_b32_e32 v71, v68
	s_and_saveexec_b64 s[2:3], vcc
	s_cbranch_execz .LBB23_129
; %bb.128:
	v_lshlrev_b32_e32 v42, 2, v68
	ds_read_b32 v42, v42 offset:19460
	v_add_u32_e32 v71, 1, v68
.LBB23_129:
	s_or_b64 exec, exec, s[2:3]
	v_cmp_ge_i32_e32 vcc, v41, v69
	v_mov_b32_e32 v73, v69
	v_mov_b32_e32 v72, v70
	s_and_saveexec_b64 s[2:3], vcc
	s_cbranch_execz .LBB23_131
; %bb.130:
	v_lshlrev_b32_e32 v72, 2, v70
	ds_read_b32 v73, v72 offset:19460
	v_add_u32_e32 v72, 1, v70
.LBB23_131:
	s_or_b64 exec, exec, s[2:3]
	v_cmp_ge_i32_sdwa s[4:5], v71, sext(v2) src0_sel:DWORD src1_sel:WORD_1
	v_add_u32_sdwa v71, v2, v20 dst_sel:DWORD dst_unused:UNUSED_PAD src0_sel:WORD_0 src1_sel:DWORD
	v_cmp_ge_i32_e64 s[2:3], v72, v71
	s_waitcnt lgkmcnt(0)
	v_cmp_ne_u32_e32 vcc, v73, v42
	s_or_b64 s[2:3], s[4:5], s[2:3]
	v_mov_b32_e32 v72, 0x8000
	s_or_b64 s[2:3], vcc, s[2:3]
	v_cndmask_b32_e64 v72, v72, 0, s[2:3]
	v_cmp_ge_i32_sdwa s[4:5], v68, sext(v2) src0_sel:DWORD src1_sel:WORD_1
	v_cmp_ge_i32_e64 s[2:3], v70, v71
	v_cmp_ne_u32_e32 vcc, v69, v41
	s_or_b64 s[2:3], s[4:5], s[2:3]
	v_mov_b32_e32 v68, 0x4000
	s_or_b64 s[2:3], vcc, s[2:3]
	v_cndmask_b32_e64 v68, v68, 0, s[2:3]
	v_cmp_ge_i32_sdwa s[4:5], v65, sext(v2) src0_sel:DWORD src1_sel:WORD_1
	v_cmp_ge_i32_e64 s[2:3], v67, v71
	;; [unrolled: 7-line block ×9, first 2 shown]
	v_cmp_ne_u32_e32 vcc, v45, v33
	s_or_b64 s[2:3], s[4:5], s[2:3]
	s_or_b64 s[2:3], vcc, s[2:3]
	v_cndmask_b32_e64 v44, 64, 0, s[2:3]
	v_cmp_ge_i32_sdwa s[4:5], v18, sext(v2) src0_sel:DWORD src1_sel:WORD_1
	v_cmp_ge_i32_e64 s[2:3], v43, v71
	v_cmp_ne_u32_e32 vcc, v19, v32
	s_or_b64 s[2:3], s[4:5], s[2:3]
	s_or_b64 s[16:17], vcc, s[2:3]
	v_cmp_ge_i32_sdwa s[6:7], v13, sext(v2) src0_sel:DWORD src1_sel:WORD_1
	v_cmp_ge_i32_e64 s[2:3], v15, v71
	v_cmp_ne_u32_e32 vcc, v14, v31
	s_or_b64 s[2:3], s[6:7], s[2:3]
	s_or_b64 s[18:19], vcc, s[2:3]
	;; [unrolled: 5-line block ×5, first 2 shown]
	v_cmp_gt_i32_sdwa s[2:3], sext(v2), v0 src0_sel:WORD_1 src1_sel:DWORD
	v_cmp_gt_i32_sdwa s[6:7], v2, v1 src0_sel:WORD_0 src1_sel:DWORD
	v_cmp_eq_u32_e32 vcc, v4, v28
	s_and_b64 s[2:3], s[2:3], s[6:7]
	s_and_b64 s[24:25], s[2:3], vcc
	v_cndmask_b32_e64 v7, 4, 0, s[22:23]
	v_cndmask_b32_e64 v3, 2, 0, s[26:27]
	;; [unrolled: 1-line block ×5, first 2 shown]
	v_or3_b32 v0, v3, v0, v7
	v_cndmask_b32_e64 v18, 32, 0, s[16:17]
	v_or3_b32 v0, v0, v10, v13
	v_or3_b32 v48, v0, v18, v44
	v_or_b32_e32 v47, v47, v48
	v_or3_b32 v46, v50, v53, v47
	v_or3_b32 v45, v56, v59, v46
	;; [unrolled: 1-line block ×4, first 2 shown]
	s_mov_b64 s[4:5], -1
	v_bcnt_u32_b32 v8, v43, 0
	s_cmp_lg_u32 s14, 0
	v_mov_b32_e32 v9, 0
	s_barrier
	s_cbranch_scc0 .LBB23_160
; %bb.132:
	v_mov_b32_dpp v1, v8 row_shr:1 row_mask:0xf bank_mask:0xf
	v_mbcnt_lo_u32_b32 v0, -1, 0
	v_add_co_u32_e32 v1, vcc, v1, v8
	v_mbcnt_hi_u32_b32 v18, -1, v0
	v_mov_b32_dpp v2, v9 row_shr:1 row_mask:0xf bank_mask:0xf
	v_addc_co_u32_e64 v3, s[2:3], 0, 0, vcc
	v_add_co_u32_e32 v4, vcc, 0, v1
	v_and_b32_e32 v0, 15, v18
	v_addc_co_u32_e32 v2, vcc, v2, v3, vcc
	v_cmp_eq_u32_e32 vcc, 0, v0
	v_cndmask_b32_e32 v1, v1, v8, vcc
	v_cndmask_b32_e64 v2, v2, 0, vcc
	v_cndmask_b32_e32 v3, v4, v8, vcc
	v_mov_b32_dpp v4, v1 row_shr:2 row_mask:0xf bank_mask:0xf
	v_mov_b32_dpp v5, v2 row_shr:2 row_mask:0xf bank_mask:0xf
	v_add_co_u32_e32 v4, vcc, v4, v3
	v_addc_co_u32_e32 v5, vcc, v5, v2, vcc
	v_cmp_lt_u32_e32 vcc, 1, v0
	v_cndmask_b32_e32 v1, v1, v4, vcc
	v_cndmask_b32_e32 v2, v2, v5, vcc
	v_cndmask_b32_e32 v3, v3, v4, vcc
	v_mov_b32_dpp v4, v1 row_shr:4 row_mask:0xf bank_mask:0xf
	v_mov_b32_dpp v5, v2 row_shr:4 row_mask:0xf bank_mask:0xf
	v_add_co_u32_e32 v4, vcc, v4, v3
	v_addc_co_u32_e32 v5, vcc, v5, v2, vcc
	v_cmp_lt_u32_e32 vcc, 3, v0
	v_cndmask_b32_e32 v1, v1, v4, vcc
	v_cndmask_b32_e32 v2, v2, v5, vcc
	;; [unrolled: 8-line block ×3, first 2 shown]
	v_cndmask_b32_e32 v2, v4, v6, vcc
	v_mov_b32_dpp v1, v0 row_bcast:15 row_mask:0xf bank_mask:0xf
	v_mov_b32_dpp v5, v3 row_bcast:15 row_mask:0xf bank_mask:0xf
	v_add_co_u32_e32 v4, vcc, v1, v2
	v_and_b32_e32 v7, 16, v18
	v_addc_co_u32_e32 v6, vcc, v5, v3, vcc
	v_cmp_eq_u32_e32 vcc, 0, v7
	v_cndmask_b32_e32 v1, v6, v3, vcc
	v_cndmask_b32_e32 v0, v4, v0, vcc
	v_cmp_eq_u32_e64 s[2:3], 0, v18
	v_mov_b32_dpp v7, v1 row_bcast:31 row_mask:0xf bank_mask:0xf
	v_mov_b32_dpp v5, v0 row_bcast:31 row_mask:0xf bank_mask:0xf
	v_cmp_ne_u32_e64 s[4:5], 0, v18
	v_pk_mov_b32 v[0:1], v[8:9], v[8:9] op_sel:[0,1]
	s_and_saveexec_b64 s[6:7], s[4:5]
; %bb.133:
	v_cndmask_b32_e32 v1, v6, v3, vcc
	v_cndmask_b32_e32 v0, v4, v2, vcc
	v_cmp_lt_u32_e32 vcc, 31, v18
	v_cndmask_b32_e32 v3, 0, v5, vcc
	v_cndmask_b32_e32 v2, 0, v7, vcc
	v_add_co_u32_e32 v0, vcc, v3, v0
	v_addc_co_u32_e32 v1, vcc, v2, v1, vcc
; %bb.134:
	s_or_b64 exec, exec, s[6:7]
	v_and_b32_e32 v3, 0x3c0, v16
	v_min_u32_e32 v3, 0xc0, v3
	v_lshrrev_b32_e32 v2, 6, v16
	v_or_b32_e32 v3, 63, v3
	v_cmp_eq_u32_e32 vcc, v3, v16
	v_lshlrev_b32_e32 v2, 3, v2
	s_and_saveexec_b64 s[4:5], vcc
	s_cbranch_execz .LBB23_136
; %bb.135:
	ds_write_b64 v2, v[0:1] offset:18432
.LBB23_136:
	s_or_b64 exec, exec, s[4:5]
	v_cmp_gt_u32_e32 vcc, 4, v16
	s_waitcnt lgkmcnt(0)
	s_barrier
	s_and_saveexec_b64 s[6:7], vcc
	s_cbranch_execz .LBB23_138
; %bb.137:
	v_lshlrev_b32_e32 v1, 3, v16
	ds_read_b64 v[4:5], v1 offset:18432
	v_and_b32_e32 v3, 3, v18
	v_cmp_ne_u32_e64 s[4:5], 1, v3
	s_waitcnt lgkmcnt(0)
	v_mov_b32_dpp v6, v4 row_shr:1 row_mask:0xf bank_mask:0xf
	v_add_co_u32_e32 v6, vcc, v4, v6
	v_addc_co_u32_e32 v10, vcc, 0, v5, vcc
	v_mov_b32_dpp v7, v5 row_shr:1 row_mask:0xf bank_mask:0xf
	v_add_co_u32_e32 v11, vcc, 0, v6
	v_addc_co_u32_e32 v7, vcc, v7, v10, vcc
	v_cmp_eq_u32_e32 vcc, 0, v3
	v_cndmask_b32_e32 v6, v6, v4, vcc
	v_cndmask_b32_e32 v10, v7, v5, vcc
	s_nop 0
	v_mov_b32_dpp v6, v6 row_shr:2 row_mask:0xf bank_mask:0xf
	v_mov_b32_dpp v10, v10 row_shr:2 row_mask:0xf bank_mask:0xf
	v_cndmask_b32_e64 v3, 0, v6, s[4:5]
	v_cndmask_b32_e64 v6, 0, v10, s[4:5]
	v_add_co_u32_e64 v3, s[4:5], v3, v11
	v_addc_co_u32_e64 v6, s[4:5], v6, v7, s[4:5]
	v_cndmask_b32_e32 v5, v6, v5, vcc
	v_cndmask_b32_e32 v4, v3, v4, vcc
	ds_write_b64 v1, v[4:5] offset:18432
.LBB23_138:
	s_or_b64 exec, exec, s[6:7]
	v_cmp_gt_u32_e32 vcc, 64, v16
	v_cmp_lt_u32_e64 s[4:5], 63, v16
	s_waitcnt lgkmcnt(0)
	s_barrier
	s_waitcnt lgkmcnt(0)
                                        ; implicit-def: $vgpr10_vgpr11
	s_and_saveexec_b64 s[6:7], s[4:5]
	s_cbranch_execz .LBB23_140
; %bb.139:
	ds_read_b64 v[10:11], v2 offset:18424
	s_waitcnt lgkmcnt(0)
	v_add_co_u32_e64 v0, s[4:5], v10, v0
.LBB23_140:
	s_or_b64 exec, exec, s[6:7]
	v_add_u32_e32 v1, -1, v18
	v_and_b32_e32 v2, 64, v18
	v_cmp_lt_i32_e64 s[4:5], v1, v2
	v_cndmask_b32_e64 v1, v1, v18, s[4:5]
	v_lshlrev_b32_e32 v1, 2, v1
	ds_bpermute_b32 v11, v1, v0
	s_and_saveexec_b64 s[28:29], vcc
	s_cbranch_execz .LBB23_159
; %bb.141:
	v_mov_b32_e32 v3, 0
	ds_read_b64 v[0:1], v3 offset:18456
	s_and_saveexec_b64 s[4:5], s[2:3]
	s_cbranch_execz .LBB23_143
; %bb.142:
	s_add_i32 s6, s14, 64
	s_mov_b32 s7, 0
	s_lshl_b64 s[6:7], s[6:7], 4
	s_add_u32 s6, s12, s6
	s_addc_u32 s7, s13, s7
	v_mov_b32_e32 v2, 1
	v_pk_mov_b32 v[4:5], s[6:7], s[6:7] op_sel:[0,1]
	s_waitcnt lgkmcnt(0)
	;;#ASMSTART
	global_store_dwordx4 v[4:5], v[0:3] off	
s_waitcnt vmcnt(0)
	;;#ASMEND
.LBB23_143:
	s_or_b64 exec, exec, s[4:5]
	v_xad_u32 v12, v18, -1, s14
	v_add_u32_e32 v2, 64, v12
	v_lshlrev_b64 v[4:5], 4, v[2:3]
	v_mov_b32_e32 v2, s13
	v_add_co_u32_e32 v14, vcc, s12, v4
	v_addc_co_u32_e32 v15, vcc, v2, v5, vcc
	;;#ASMSTART
	global_load_dwordx4 v[4:7], v[14:15] off glc	
s_waitcnt vmcnt(0)
	;;#ASMEND
	v_and_b32_e32 v2, 0xff, v5
	v_and_b32_e32 v7, 0xff00, v5
	;; [unrolled: 1-line block ×3, first 2 shown]
	v_or3_b32 v2, 0, v2, v7
	v_or3_b32 v4, v4, 0, 0
	v_and_b32_e32 v5, 0xff000000, v5
	v_or3_b32 v5, v2, v13, v5
	v_or3_b32 v4, v4, 0, 0
	v_cmp_eq_u16_sdwa s[6:7], v6, v3 src0_sel:BYTE_0 src1_sel:DWORD
	s_and_saveexec_b64 s[4:5], s[6:7]
	s_cbranch_execz .LBB23_147
; %bb.144:
	s_mov_b64 s[6:7], 0
	v_mov_b32_e32 v2, 0
.LBB23_145:                             ; =>This Inner Loop Header: Depth=1
	;;#ASMSTART
	global_load_dwordx4 v[4:7], v[14:15] off glc	
s_waitcnt vmcnt(0)
	;;#ASMEND
	v_cmp_ne_u16_sdwa s[30:31], v6, v2 src0_sel:BYTE_0 src1_sel:DWORD
	s_or_b64 s[6:7], s[30:31], s[6:7]
	s_andn2_b64 exec, exec, s[6:7]
	s_cbranch_execnz .LBB23_145
; %bb.146:
	s_or_b64 exec, exec, s[6:7]
.LBB23_147:
	s_or_b64 exec, exec, s[4:5]
	v_and_b32_e32 v50, 63, v18
	v_mov_b32_e32 v49, 2
	v_cmp_ne_u32_e32 vcc, 63, v50
	v_cmp_eq_u16_sdwa s[4:5], v6, v49 src0_sel:BYTE_0 src1_sel:DWORD
	v_lshlrev_b64 v[14:15], v18, -1
	v_addc_co_u32_e32 v7, vcc, 0, v18, vcc
	v_and_b32_e32 v2, s5, v15
	v_lshlrev_b32_e32 v51, 2, v7
	v_or_b32_e32 v2, 0x80000000, v2
	ds_bpermute_b32 v7, v51, v4
	v_and_b32_e32 v3, s4, v14
	v_ffbl_b32_e32 v2, v2
	v_add_u32_e32 v2, 32, v2
	v_ffbl_b32_e32 v3, v3
	v_min_u32_e32 v2, v3, v2
	ds_bpermute_b32 v3, v51, v5
	s_waitcnt lgkmcnt(1)
	v_add_co_u32_e32 v7, vcc, v4, v7
	v_addc_co_u32_e32 v19, vcc, 0, v5, vcc
	v_add_co_u32_e32 v53, vcc, 0, v7
	v_cmp_gt_u32_e64 s[4:5], 62, v50
	s_waitcnt lgkmcnt(0)
	v_addc_co_u32_e32 v3, vcc, v3, v19, vcc
	v_cndmask_b32_e64 v19, 0, 1, s[4:5]
	v_cmp_lt_u32_e32 vcc, v50, v2
	v_lshlrev_b32_e32 v19, 1, v19
	v_cndmask_b32_e32 v7, v4, v7, vcc
	v_add_lshl_u32 v52, v19, v18, 2
	v_cndmask_b32_e32 v3, v5, v3, vcc
	ds_bpermute_b32 v19, v52, v7
	ds_bpermute_b32 v54, v52, v3
	v_cndmask_b32_e32 v55, v4, v53, vcc
	v_add_u32_e32 v53, 2, v50
	v_cmp_gt_u32_e64 s[6:7], 60, v50
	s_waitcnt lgkmcnt(1)
	v_add_co_u32_e64 v19, s[4:5], v19, v55
	s_waitcnt lgkmcnt(0)
	v_addc_co_u32_e64 v54, s[4:5], v54, v3, s[4:5]
	v_cmp_gt_u32_e64 s[4:5], v53, v2
	v_cndmask_b32_e64 v3, v54, v3, s[4:5]
	v_cndmask_b32_e64 v54, 0, 1, s[6:7]
	v_lshlrev_b32_e32 v54, 2, v54
	v_cndmask_b32_e64 v7, v19, v7, s[4:5]
	v_add_lshl_u32 v54, v54, v18, 2
	ds_bpermute_b32 v56, v54, v7
	ds_bpermute_b32 v57, v54, v3
	v_cndmask_b32_e64 v19, v19, v55, s[4:5]
	v_add_u32_e32 v55, 4, v50
	v_cmp_gt_u32_e64 s[6:7], 56, v50
	s_waitcnt lgkmcnt(1)
	v_add_co_u32_e64 v58, s[4:5], v56, v19
	s_waitcnt lgkmcnt(0)
	v_addc_co_u32_e64 v56, s[4:5], v57, v3, s[4:5]
	v_cmp_gt_u32_e64 s[4:5], v55, v2
	v_cndmask_b32_e64 v3, v56, v3, s[4:5]
	v_cndmask_b32_e64 v56, 0, 1, s[6:7]
	v_lshlrev_b32_e32 v56, 3, v56
	v_cndmask_b32_e64 v7, v58, v7, s[4:5]
	v_add_lshl_u32 v56, v56, v18, 2
	ds_bpermute_b32 v59, v56, v7
	v_cndmask_b32_e64 v19, v58, v19, s[4:5]
	ds_bpermute_b32 v58, v56, v3
	v_add_u32_e32 v57, 8, v50
	v_cmp_gt_u32_e64 s[6:7], 48, v50
	s_waitcnt lgkmcnt(1)
	v_add_co_u32_e64 v59, s[4:5], v59, v19
	s_waitcnt lgkmcnt(0)
	v_addc_co_u32_e64 v58, s[4:5], v58, v3, s[4:5]
	v_cmp_gt_u32_e64 s[4:5], v57, v2
	v_cndmask_b32_e64 v3, v58, v3, s[4:5]
	v_cndmask_b32_e64 v58, 0, 1, s[6:7]
	v_lshlrev_b32_e32 v58, 4, v58
	v_cndmask_b32_e64 v7, v59, v7, s[4:5]
	v_add_lshl_u32 v58, v58, v18, 2
	ds_bpermute_b32 v60, v58, v7
	ds_bpermute_b32 v61, v58, v3
	v_cndmask_b32_e64 v19, v59, v19, s[4:5]
	v_cmp_gt_u32_e64 s[6:7], 32, v50
	v_add_u32_e32 v59, 16, v50
	s_waitcnt lgkmcnt(1)
	v_add_co_u32_e64 v62, s[4:5], v60, v19
	s_waitcnt lgkmcnt(0)
	v_addc_co_u32_e64 v61, s[4:5], v61, v3, s[4:5]
	v_cndmask_b32_e64 v60, 0, 1, s[6:7]
	v_cmp_gt_u32_e64 s[4:5], v59, v2
	v_lshlrev_b32_e32 v60, 5, v60
	v_cndmask_b32_e64 v7, v62, v7, s[4:5]
	v_add_lshl_u32 v60, v60, v18, 2
	v_cndmask_b32_e64 v3, v61, v3, s[4:5]
	ds_bpermute_b32 v7, v60, v7
	ds_bpermute_b32 v18, v60, v3
	v_add_u32_e32 v61, 32, v50
	v_cndmask_b32_e64 v19, v62, v19, s[4:5]
	v_cmp_le_u32_e64 s[4:5], v61, v2
	s_waitcnt lgkmcnt(1)
	v_cndmask_b32_e64 v7, 0, v7, s[4:5]
	s_waitcnt lgkmcnt(0)
	v_cndmask_b32_e64 v2, 0, v18, s[4:5]
	v_add_co_u32_e64 v7, s[4:5], v7, v19
	v_addc_co_u32_e64 v2, s[4:5], v2, v3, s[4:5]
	v_mov_b32_e32 v13, 0
	v_cndmask_b32_e32 v5, v5, v2, vcc
	v_cndmask_b32_e32 v4, v4, v7, vcc
	s_branch .LBB23_149
.LBB23_148:                             ;   in Loop: Header=BB23_149 Depth=1
	s_or_b64 exec, exec, s[4:5]
	v_cmp_eq_u16_sdwa s[4:5], v6, v49 src0_sel:BYTE_0 src1_sel:DWORD
	v_and_b32_e32 v7, s5, v15
	v_or_b32_e32 v7, 0x80000000, v7
	ds_bpermute_b32 v19, v51, v4
	v_and_b32_e32 v18, s4, v14
	v_ffbl_b32_e32 v7, v7
	v_add_u32_e32 v7, 32, v7
	v_ffbl_b32_e32 v18, v18
	v_min_u32_e32 v7, v18, v7
	ds_bpermute_b32 v18, v51, v5
	s_waitcnt lgkmcnt(1)
	v_add_co_u32_e32 v19, vcc, v4, v19
	v_addc_co_u32_e32 v62, vcc, 0, v5, vcc
	v_add_co_u32_e32 v63, vcc, 0, v19
	s_waitcnt lgkmcnt(0)
	v_addc_co_u32_e32 v18, vcc, v18, v62, vcc
	v_cmp_lt_u32_e32 vcc, v50, v7
	v_cndmask_b32_e32 v19, v4, v19, vcc
	ds_bpermute_b32 v62, v52, v19
	v_cndmask_b32_e32 v18, v5, v18, vcc
	ds_bpermute_b32 v64, v52, v18
	v_cndmask_b32_e32 v63, v4, v63, vcc
	v_subrev_u32_e32 v12, 64, v12
	s_waitcnt lgkmcnt(1)
	v_add_co_u32_e64 v62, s[4:5], v62, v63
	s_waitcnt lgkmcnt(0)
	v_addc_co_u32_e64 v64, s[4:5], v64, v18, s[4:5]
	v_cmp_gt_u32_e64 s[4:5], v53, v7
	v_cndmask_b32_e64 v19, v62, v19, s[4:5]
	ds_bpermute_b32 v65, v54, v19
	v_cndmask_b32_e64 v18, v64, v18, s[4:5]
	ds_bpermute_b32 v64, v54, v18
	v_cndmask_b32_e64 v62, v62, v63, s[4:5]
	s_waitcnt lgkmcnt(1)
	v_add_co_u32_e64 v63, s[4:5], v65, v62
	s_waitcnt lgkmcnt(0)
	v_addc_co_u32_e64 v64, s[4:5], v64, v18, s[4:5]
	v_cmp_gt_u32_e64 s[4:5], v55, v7
	v_cndmask_b32_e64 v19, v63, v19, s[4:5]
	ds_bpermute_b32 v65, v56, v19
	v_cndmask_b32_e64 v18, v64, v18, s[4:5]
	ds_bpermute_b32 v64, v56, v18
	v_cndmask_b32_e64 v62, v63, v62, s[4:5]
	;; [unrolled: 10-line block ×3, first 2 shown]
	s_waitcnt lgkmcnt(1)
	v_add_co_u32_e64 v63, s[4:5], v65, v62
	s_waitcnt lgkmcnt(0)
	v_addc_co_u32_e64 v64, s[4:5], v64, v18, s[4:5]
	v_cmp_gt_u32_e64 s[4:5], v59, v7
	v_cndmask_b32_e64 v19, v63, v19, s[4:5]
	v_cndmask_b32_e64 v18, v64, v18, s[4:5]
	ds_bpermute_b32 v19, v60, v19
	ds_bpermute_b32 v64, v60, v18
	v_cndmask_b32_e64 v62, v63, v62, s[4:5]
	v_cmp_le_u32_e64 s[4:5], v61, v7
	s_waitcnt lgkmcnt(1)
	v_cndmask_b32_e64 v19, 0, v19, s[4:5]
	s_waitcnt lgkmcnt(0)
	v_cndmask_b32_e64 v7, 0, v64, s[4:5]
	v_add_co_u32_e64 v19, s[4:5], v19, v62
	v_addc_co_u32_e64 v7, s[4:5], v7, v18, s[4:5]
	v_cndmask_b32_e32 v4, v4, v19, vcc
	v_cndmask_b32_e32 v5, v5, v7, vcc
	v_add_co_u32_e32 v4, vcc, v4, v2
	v_addc_co_u32_e32 v5, vcc, v5, v3, vcc
.LBB23_149:                             ; =>This Loop Header: Depth=1
                                        ;     Child Loop BB23_152 Depth 2
	v_cmp_ne_u16_sdwa s[4:5], v6, v49 src0_sel:BYTE_0 src1_sel:DWORD
	v_cndmask_b32_e64 v2, 0, 1, s[4:5]
	;;#ASMSTART
	;;#ASMEND
	v_cmp_ne_u32_e32 vcc, 0, v2
	s_cmp_lg_u64 vcc, exec
	v_pk_mov_b32 v[2:3], v[4:5], v[4:5] op_sel:[0,1]
	s_cbranch_scc1 .LBB23_154
; %bb.150:                              ;   in Loop: Header=BB23_149 Depth=1
	v_lshlrev_b64 v[4:5], 4, v[12:13]
	v_mov_b32_e32 v6, s13
	v_add_co_u32_e32 v18, vcc, s12, v4
	v_addc_co_u32_e32 v19, vcc, v6, v5, vcc
	;;#ASMSTART
	global_load_dwordx4 v[4:7], v[18:19] off glc	
s_waitcnt vmcnt(0)
	;;#ASMEND
	v_and_b32_e32 v7, 0xff, v5
	v_and_b32_e32 v62, 0xff00, v5
	;; [unrolled: 1-line block ×3, first 2 shown]
	v_or3_b32 v7, 0, v7, v62
	v_or3_b32 v4, v4, 0, 0
	v_and_b32_e32 v5, 0xff000000, v5
	v_or3_b32 v5, v7, v63, v5
	v_or3_b32 v4, v4, 0, 0
	v_cmp_eq_u16_sdwa s[6:7], v6, v13 src0_sel:BYTE_0 src1_sel:DWORD
	s_and_saveexec_b64 s[4:5], s[6:7]
	s_cbranch_execz .LBB23_148
; %bb.151:                              ;   in Loop: Header=BB23_149 Depth=1
	s_mov_b64 s[6:7], 0
.LBB23_152:                             ;   Parent Loop BB23_149 Depth=1
                                        ; =>  This Inner Loop Header: Depth=2
	;;#ASMSTART
	global_load_dwordx4 v[4:7], v[18:19] off glc	
s_waitcnt vmcnt(0)
	;;#ASMEND
	v_cmp_ne_u16_sdwa s[30:31], v6, v13 src0_sel:BYTE_0 src1_sel:DWORD
	s_or_b64 s[6:7], s[30:31], s[6:7]
	s_andn2_b64 exec, exec, s[6:7]
	s_cbranch_execnz .LBB23_152
; %bb.153:                              ;   in Loop: Header=BB23_149 Depth=1
	s_or_b64 exec, exec, s[6:7]
	s_branch .LBB23_148
.LBB23_154:                             ;   in Loop: Header=BB23_149 Depth=1
                                        ; implicit-def: $vgpr4_vgpr5
                                        ; implicit-def: $vgpr6
	s_cbranch_execz .LBB23_149
; %bb.155:
	s_and_saveexec_b64 s[4:5], s[2:3]
	s_cbranch_execz .LBB23_157
; %bb.156:
	s_add_i32 s6, s14, 64
	s_mov_b32 s7, 0
	s_lshl_b64 s[6:7], s[6:7], 4
	s_add_u32 s6, s12, s6
	v_add_co_u32_e32 v4, vcc, v2, v0
	s_addc_u32 s7, s13, s7
	v_addc_co_u32_e32 v5, vcc, v3, v1, vcc
	v_mov_b32_e32 v6, 2
	v_mov_b32_e32 v7, 0
	v_pk_mov_b32 v[12:13], s[6:7], s[6:7] op_sel:[0,1]
	;;#ASMSTART
	global_store_dwordx4 v[12:13], v[4:7] off	
s_waitcnt vmcnt(0)
	;;#ASMEND
	ds_write_b128 v7, v[0:3] offset:18464
.LBB23_157:
	s_or_b64 exec, exec, s[4:5]
	s_and_b64 exec, exec, s[0:1]
	s_cbranch_execz .LBB23_159
; %bb.158:
	v_mov_b32_e32 v0, 0
	ds_write_b64 v0, v[2:3] offset:18456
.LBB23_159:
	s_or_b64 exec, exec, s[28:29]
	v_mov_b32_e32 v0, 0
	s_waitcnt lgkmcnt(0)
	v_cndmask_b32_e64 v1, v11, v10, s[2:3]
	s_barrier
	ds_read_b64 v[2:3], v0 offset:18456
	s_waitcnt lgkmcnt(0)
	v_cndmask_b32_e64 v3, v1, 0, s[0:1]
	s_barrier
	ds_read_b64 v[0:1], v0 offset:18472
	v_add_co_u32_e32 v4, vcc, v2, v3
	s_movk_i32 s15, 0x4820
	s_branch .LBB23_170
.LBB23_160:
                                        ; implicit-def: $vgpr0_vgpr1
                                        ; implicit-def: $sgpr15
                                        ; implicit-def: $vgpr4_vgpr5
	s_and_b64 vcc, exec, s[4:5]
	s_cbranch_vccz .LBB23_170
; %bb.161:
	v_mov_b32_dpp v2, v8 row_shr:1 row_mask:0xf bank_mask:0xf
	s_waitcnt lgkmcnt(0)
	v_mov_b32_e32 v0, 0
	v_mbcnt_lo_u32_b32 v1, -1, 0
	v_add_co_u32_e32 v2, vcc, v2, v8
	v_mbcnt_hi_u32_b32 v4, -1, v1
	v_mov_b32_dpp v0, v0 row_shr:1 row_mask:0xf bank_mask:0xf
	v_addc_co_u32_e64 v3, s[2:3], 0, 0, vcc
	v_add_co_u32_e32 v5, vcc, 0, v2
	v_and_b32_e32 v1, 15, v4
	v_addc_co_u32_e32 v0, vcc, v0, v3, vcc
	v_cmp_eq_u32_e32 vcc, 0, v1
	v_cndmask_b32_e32 v2, v2, v8, vcc
	v_cndmask_b32_e64 v0, v0, 0, vcc
	v_cndmask_b32_e32 v3, v5, v8, vcc
	v_mov_b32_dpp v5, v2 row_shr:2 row_mask:0xf bank_mask:0xf
	v_mov_b32_dpp v6, v0 row_shr:2 row_mask:0xf bank_mask:0xf
	v_add_co_u32_e32 v5, vcc, v5, v3
	v_addc_co_u32_e32 v6, vcc, v6, v0, vcc
	v_cmp_lt_u32_e32 vcc, 1, v1
	v_cndmask_b32_e32 v2, v2, v5, vcc
	v_cndmask_b32_e32 v0, v0, v6, vcc
	v_cndmask_b32_e32 v3, v3, v5, vcc
	v_mov_b32_dpp v5, v2 row_shr:4 row_mask:0xf bank_mask:0xf
	v_mov_b32_dpp v6, v0 row_shr:4 row_mask:0xf bank_mask:0xf
	v_add_co_u32_e32 v5, vcc, v5, v3
	v_addc_co_u32_e32 v6, vcc, v6, v0, vcc
	v_cmp_lt_u32_e32 vcc, 3, v1
	v_cndmask_b32_e32 v2, v2, v5, vcc
	v_cndmask_b32_e32 v0, v0, v6, vcc
	;; [unrolled: 8-line block ×3, first 2 shown]
	v_cndmask_b32_e32 v0, v3, v5, vcc
	v_mov_b32_dpp v3, v1 row_bcast:15 row_mask:0xf bank_mask:0xf
	v_mov_b32_dpp v2, v6 row_bcast:15 row_mask:0xf bank_mask:0xf
	v_and_b32_e32 v7, 16, v4
	v_add_co_u32_e32 v2, vcc, v2, v0
	v_addc_co_u32_e32 v5, vcc, v3, v1, vcc
	v_cmp_eq_u32_e64 s[2:3], 0, v7
	v_cndmask_b32_e64 v7, v5, v1, s[2:3]
	v_cndmask_b32_e64 v3, v2, v6, s[2:3]
	v_cmp_eq_u32_e32 vcc, 0, v4
	v_mov_b32_dpp v6, v7 row_bcast:31 row_mask:0xf bank_mask:0xf
	v_mov_b32_dpp v3, v3 row_bcast:31 row_mask:0xf bank_mask:0xf
	v_cmp_ne_u32_e64 s[4:5], 0, v4
	s_and_saveexec_b64 s[6:7], s[4:5]
; %bb.162:
	v_cndmask_b32_e64 v1, v5, v1, s[2:3]
	v_cndmask_b32_e64 v0, v2, v0, s[2:3]
	v_cmp_lt_u32_e64 s[2:3], 31, v4
	v_cndmask_b32_e64 v3, 0, v3, s[2:3]
	v_cndmask_b32_e64 v2, 0, v6, s[2:3]
	v_add_co_u32_e64 v8, s[2:3], v3, v0
	v_addc_co_u32_e64 v9, s[2:3], v2, v1, s[2:3]
; %bb.163:
	s_or_b64 exec, exec, s[6:7]
	v_and_b32_e32 v1, 0x3c0, v16
	v_min_u32_e32 v1, 0xc0, v1
	v_lshrrev_b32_e32 v0, 6, v16
	v_or_b32_e32 v1, 63, v1
	v_cmp_eq_u32_e64 s[2:3], v1, v16
	v_lshlrev_b32_e32 v5, 3, v0
	s_and_saveexec_b64 s[4:5], s[2:3]
	s_cbranch_execz .LBB23_165
; %bb.164:
	ds_write_b64 v5, v[8:9] offset:18432
.LBB23_165:
	s_or_b64 exec, exec, s[4:5]
	v_cmp_gt_u32_e64 s[2:3], 4, v16
	s_waitcnt lgkmcnt(0)
	s_barrier
	s_and_saveexec_b64 s[6:7], s[2:3]
	s_cbranch_execz .LBB23_167
; %bb.166:
	v_lshl_add_u32 v2, v16, 2, v17
	ds_read_b64 v[0:1], v2
	v_and_b32_e32 v3, 3, v4
	v_cmp_ne_u32_e64 s[4:5], 1, v3
	s_waitcnt lgkmcnt(0)
	v_mov_b32_dpp v6, v0 row_shr:1 row_mask:0xf bank_mask:0xf
	v_add_co_u32_e64 v6, s[2:3], v0, v6
	v_addc_co_u32_e64 v9, s[2:3], 0, v1, s[2:3]
	v_mov_b32_dpp v7, v1 row_shr:1 row_mask:0xf bank_mask:0xf
	v_add_co_u32_e64 v10, s[2:3], 0, v6
	v_addc_co_u32_e64 v7, s[2:3], v7, v9, s[2:3]
	v_cmp_eq_u32_e64 s[2:3], 0, v3
	v_cndmask_b32_e64 v6, v6, v0, s[2:3]
	v_cndmask_b32_e64 v9, v7, v1, s[2:3]
	s_nop 0
	v_mov_b32_dpp v6, v6 row_shr:2 row_mask:0xf bank_mask:0xf
	v_mov_b32_dpp v9, v9 row_shr:2 row_mask:0xf bank_mask:0xf
	v_cndmask_b32_e64 v3, 0, v6, s[4:5]
	v_cndmask_b32_e64 v6, 0, v9, s[4:5]
	v_add_co_u32_e64 v3, s[4:5], v3, v10
	v_addc_co_u32_e64 v6, s[4:5], v6, v7, s[4:5]
	v_cndmask_b32_e64 v1, v6, v1, s[2:3]
	v_cndmask_b32_e64 v0, v3, v0, s[2:3]
	ds_write_b64 v2, v[0:1]
.LBB23_167:
	s_or_b64 exec, exec, s[6:7]
	v_pk_mov_b32 v[0:1], 0, 0
	v_cmp_lt_u32_e64 s[2:3], 63, v16
	v_pk_mov_b32 v[2:3], v[0:1], v[0:1] op_sel:[0,1]
	s_waitcnt lgkmcnt(0)
	s_barrier
	s_and_saveexec_b64 s[4:5], s[2:3]
	s_cbranch_execz .LBB23_169
; %bb.168:
	ds_read_b64 v[2:3], v5 offset:18424
.LBB23_169:
	s_or_b64 exec, exec, s[4:5]
	v_add_u32_e32 v5, -1, v4
	v_and_b32_e32 v6, 64, v4
	v_cmp_lt_i32_e64 s[2:3], v5, v6
	v_cndmask_b32_e64 v4, v5, v4, s[2:3]
	s_waitcnt lgkmcnt(0)
	v_add_u32_e32 v3, v2, v8
	v_lshlrev_b32_e32 v4, 2, v4
	ds_bpermute_b32 v3, v4, v3
	s_movk_i32 s15, 0x4818
	s_waitcnt lgkmcnt(0)
	v_cndmask_b32_e32 v4, v3, v2, vcc
.LBB23_170:
	v_mov_b32_e32 v2, s15
	ds_read_b64 v[2:3], v2
	s_xor_b64 s[2:3], s[16:17], -1
	s_xor_b64 s[4:5], s[18:19], -1
	;; [unrolled: 1-line block ×5, first 2 shown]
	s_waitcnt lgkmcnt(1)
	v_sub_u32_e32 v4, v4, v0
	s_waitcnt lgkmcnt(0)
	s_barrier
	s_and_saveexec_b64 s[20:21], s[24:25]
	s_cbranch_execnz .LBB23_221
; %bb.171:
	s_or_b64 exec, exec, s[20:21]
	s_and_saveexec_b64 s[20:21], s[18:19]
	s_cbranch_execnz .LBB23_222
.LBB23_172:
	s_or_b64 exec, exec, s[20:21]
	s_and_saveexec_b64 s[18:19], s[16:17]
	s_cbranch_execnz .LBB23_223
.LBB23_173:
	s_or_b64 exec, exec, s[18:19]
	s_and_saveexec_b64 s[16:17], s[6:7]
	s_cbranch_execnz .LBB23_224
.LBB23_174:
	s_or_b64 exec, exec, s[16:17]
	s_and_saveexec_b64 s[6:7], s[4:5]
	s_cbranch_execnz .LBB23_225
.LBB23_175:
	s_or_b64 exec, exec, s[6:7]
	s_and_saveexec_b64 s[4:5], s[2:3]
	s_cbranch_execz .LBB23_177
.LBB23_176:
	v_lshlrev_b32_e32 v5, 2, v4
	v_add_u32_e32 v4, 1, v4
	ds_write_b32 v5, v32 offset:19456
.LBB23_177:
	s_or_b64 exec, exec, s[4:5]
	v_and_b32_e32 v5, 64, v48
	v_cmp_ne_u32_e32 vcc, 0, v5
	s_and_saveexec_b64 s[2:3], vcc
	s_cbranch_execz .LBB23_179
; %bb.178:
	v_lshlrev_b32_e32 v5, 2, v4
	v_add_u32_e32 v4, 1, v4
	ds_write_b32 v5, v33 offset:19456
.LBB23_179:
	s_or_b64 exec, exec, s[2:3]
	v_and_b32_e32 v5, 0x80, v47
	v_cmp_ne_u32_e32 vcc, 0, v5
	s_and_saveexec_b64 s[2:3], vcc
	s_cbranch_execz .LBB23_181
; %bb.180:
	v_lshlrev_b32_e32 v5, 2, v4
	v_add_u32_e32 v4, 1, v4
	ds_write_b32 v5, v34 offset:19456
.LBB23_181:
	;; [unrolled: 10-line block ×9, first 2 shown]
	s_or_b64 exec, exec, s[2:3]
	v_and_b32_e32 v5, 0x8000, v43
	v_cmp_ne_u32_e32 vcc, 0, v5
	s_and_saveexec_b64 s[2:3], vcc
	s_cbranch_execz .LBB23_197
; %bb.196:
	v_lshlrev_b32_e32 v4, 2, v4
	ds_write_b32 v4, v42 offset:19456
.LBB23_197:
	s_or_b64 exec, exec, s[2:3]
	v_cmp_lt_i32_e32 vcc, v16, v2
	s_waitcnt lgkmcnt(0)
	s_barrier
	s_and_saveexec_b64 s[4:5], vcc
	s_cbranch_execz .LBB23_205
; %bb.198:
	v_xad_u32 v7, v16, -1, v2
	s_movk_i32 s2, 0xff
	v_cmp_lt_u32_e32 vcc, s2, v7
	s_mov_b64 s[2:3], -1
	v_lshlrev_b64 v[4:5], 2, v[0:1]
	v_mov_b32_e32 v6, v16
	s_and_saveexec_b64 s[6:7], vcc
	s_cbranch_execz .LBB23_202
; %bb.199:
	v_lshrrev_b32_e32 v6, 8, v7
	v_add_u32_e32 v10, 1, v6
	v_mov_b32_e32 v6, s9
	v_add_co_u32_e32 v12, vcc, s8, v4
	v_and_b32_e32 v11, 0x1fffffe, v10
	v_add_u32_e32 v17, 0x100, v16
	v_addc_co_u32_e32 v13, vcc, v6, v5, vcc
	s_mov_b64 s[16:17], 0
	v_mov_b32_e32 v7, 0
	v_mov_b32_e32 v14, v11
	v_pk_mov_b32 v[8:9], v[16:17], v[16:17] op_sel:[0,1]
.LBB23_200:                             ; =>This Inner Loop Header: Depth=1
	ds_read2st64_b32 v[18:19], v26 offset1:4
	v_mov_b32_e32 v6, v8
	v_add_u32_e32 v14, -2, v14
	v_lshlrev_b64 v[28:29], 2, v[6:7]
	v_mov_b32_e32 v6, v9
	v_cmp_eq_u32_e32 vcc, 0, v14
	v_add_co_u32_e64 v28, s[2:3], v12, v28
	v_lshlrev_b64 v[30:31], 2, v[6:7]
	v_add_u32_e32 v8, 0x200, v8
	v_add_u32_e32 v26, 0x800, v26
	;; [unrolled: 1-line block ×3, first 2 shown]
	v_addc_co_u32_e64 v29, s[2:3], v13, v29, s[2:3]
	s_or_b64 s[16:17], vcc, s[16:17]
	v_add_co_u32_e32 v30, vcc, v12, v30
	v_addc_co_u32_e32 v31, vcc, v13, v31, vcc
	s_waitcnt lgkmcnt(0)
	global_store_dword v[28:29], v18, off
	global_store_dword v[30:31], v19, off
	s_andn2_b64 exec, exec, s[16:17]
	s_cbranch_execnz .LBB23_200
; %bb.201:
	s_or_b64 exec, exec, s[16:17]
	v_cmp_ne_u32_e32 vcc, v10, v11
	v_lshl_add_u32 v6, v11, 8, v16
	s_orn2_b64 s[2:3], vcc, exec
.LBB23_202:
	s_or_b64 exec, exec, s[6:7]
	s_and_b64 exec, exec, s[2:3]
	s_cbranch_execz .LBB23_205
; %bb.203:
	v_mov_b32_e32 v7, 0x4c00
	v_lshl_add_u32 v8, v6, 2, v7
	v_mov_b32_e32 v7, 0
	v_lshlrev_b64 v[10:11], 2, v[6:7]
	v_mov_b32_e32 v7, s9
	v_add_co_u32_e32 v4, vcc, s8, v4
	v_addc_co_u32_e32 v5, vcc, v7, v5, vcc
	v_add_co_u32_e32 v4, vcc, v4, v10
	v_addc_co_u32_e32 v5, vcc, v5, v11, vcc
	s_mov_b64 s[2:3], 0
.LBB23_204:                             ; =>This Inner Loop Header: Depth=1
	ds_read_b32 v7, v8
	v_add_u32_e32 v6, 0x100, v6
	v_cmp_ge_i32_e32 vcc, v6, v2
	s_or_b64 s[2:3], vcc, s[2:3]
	v_add_u32_e32 v8, 0x400, v8
	s_waitcnt lgkmcnt(0)
	global_store_dword v[4:5], v7, off
	v_add_co_u32_e32 v4, vcc, 0x400, v4
	v_addc_co_u32_e32 v5, vcc, 0, v5, vcc
	s_andn2_b64 exec, exec, s[2:3]
	s_cbranch_execnz .LBB23_204
.LBB23_205:
	s_or_b64 exec, exec, s[4:5]
	s_and_saveexec_b64 s[2:3], s[0:1]
	s_cbranch_execz .LBB23_207
; %bb.206:
	v_add_co_u32_e32 v0, vcc, v2, v0
	v_mov_b32_e32 v4, 0
	v_addc_co_u32_e32 v1, vcc, v3, v1, vcc
	global_store_dwordx2 v4, v[0:1], s[10:11]
.LBB23_207:
	s_or_b64 exec, exec, s[2:3]
	s_mov_b64 s[0:1], 0
.LBB23_208:
	s_and_b64 vcc, exec, s[0:1]
	s_cbranch_vccz .LBB23_388
; %bb.209:
	v_lshlrev_b32_e32 v26, 2, v16
	v_sub_u32_e32 v4, v16, v20
	v_add_co_u32_e32 v2, vcc, v24, v26
	v_ashrrev_i32_e32 v5, 31, v4
	v_addc_co_u32_e32 v1, vcc, 0, v25, vcc
	v_lshlrev_b64 v[4:5], 2, v[4:5]
	v_add_co_u32_e32 v0, vcc, v22, v4
	v_addc_co_u32_e32 v3, vcc, v23, v5, vcc
	v_cmp_lt_i32_e32 vcc, v16, v20
	v_cndmask_b32_e32 v5, v3, v1, vcc
	v_cndmask_b32_e32 v4, v0, v2, vcc
	global_load_dword v0, v[4:5], off
	v_ashrrev_i32_e32 v5, 31, v20
	v_sub_co_u32_e32 v4, vcc, v16, v20
	v_subb_co_u32_e32 v5, vcc, 0, v5, vcc
	v_lshlrev_b64 v[4:5], 2, v[4:5]
	v_add_co_u32_e32 v6, vcc, v22, v4
	v_add_u32_e32 v3, 0x100, v16
	v_addc_co_u32_e32 v7, vcc, v23, v5, vcc
	v_cmp_lt_i32_e32 vcc, v3, v20
	v_cndmask_b32_e32 v5, v7, v1, vcc
	v_cndmask_b32_e32 v4, v6, v2, vcc
	global_load_dword v3, v[4:5], off offset:1024
	v_add_u32_e32 v4, 0x200, v16
	v_cmp_lt_i32_e32 vcc, v4, v20
	v_cndmask_b32_e32 v5, v7, v1, vcc
	v_cndmask_b32_e32 v4, v6, v2, vcc
	global_load_dword v4, v[4:5], off offset:2048
	v_add_u32_e32 v5, 0x300, v16
	v_cmp_lt_i32_e32 vcc, v5, v20
	v_cndmask_b32_e32 v7, v7, v1, vcc
	v_cndmask_b32_e32 v6, v6, v2, vcc
	v_or_b32_e32 v8, 0x400, v16
	global_load_dword v5, v[6:7], off offset:3072
	v_lshlrev_b32_e32 v6, 2, v8
	v_add_co_u32_e32 v9, vcc, v24, v6
	v_sub_u32_e32 v6, v8, v20
	v_ashrrev_i32_e32 v7, 31, v6
	v_addc_co_u32_e32 v10, vcc, 0, v25, vcc
	v_lshlrev_b64 v[6:7], 2, v[6:7]
	v_add_co_u32_e32 v6, vcc, v22, v6
	v_addc_co_u32_e32 v7, vcc, v23, v7, vcc
	v_cmp_lt_i32_e32 vcc, v8, v20
	v_cndmask_b32_e32 v7, v7, v10, vcc
	v_cndmask_b32_e32 v6, v6, v9, vcc
	global_load_dword v6, v[6:7], off
	v_add_u32_e32 v7, 0x500, v16
	s_movk_i32 s0, 0x1400
	v_sub_u32_e32 v8, v7, v20
	v_add_co_u32_e32 v10, vcc, s0, v2
	v_ashrrev_i32_e32 v9, 31, v8
	v_addc_co_u32_e32 v11, vcc, 0, v1, vcc
	v_lshlrev_b64 v[8:9], 2, v[8:9]
	v_add_co_u32_e32 v8, vcc, v22, v8
	v_addc_co_u32_e32 v9, vcc, v23, v9, vcc
	v_cmp_lt_i32_e32 vcc, v7, v20
	v_cndmask_b32_e32 v9, v9, v11, vcc
	v_cndmask_b32_e32 v8, v8, v10, vcc
	v_add_u32_e32 v10, 0x600, v16
	global_load_dword v7, v[8:9], off
	s_movk_i32 s0, 0x1800
	v_sub_u32_e32 v8, v10, v20
	v_add_co_u32_e32 v11, vcc, s0, v2
	v_ashrrev_i32_e32 v9, 31, v8
	v_addc_co_u32_e32 v12, vcc, 0, v1, vcc
	v_lshlrev_b64 v[8:9], 2, v[8:9]
	v_add_co_u32_e32 v8, vcc, v22, v8
	v_addc_co_u32_e32 v9, vcc, v23, v9, vcc
	v_cmp_lt_i32_e32 vcc, v10, v20
	v_cndmask_b32_e32 v9, v9, v12, vcc
	v_cndmask_b32_e32 v8, v8, v11, vcc
	global_load_dword v8, v[8:9], off
	v_add_u32_e32 v9, 0x700, v16
	s_movk_i32 s0, 0x1c00
	v_sub_u32_e32 v10, v9, v20
	v_add_co_u32_e32 v12, vcc, s0, v2
	v_ashrrev_i32_e32 v11, 31, v10
	v_addc_co_u32_e32 v13, vcc, 0, v1, vcc
	v_lshlrev_b64 v[10:11], 2, v[10:11]
	v_add_co_u32_e32 v10, vcc, v22, v10
	v_addc_co_u32_e32 v11, vcc, v23, v11, vcc
	v_cmp_lt_i32_e32 vcc, v9, v20
	v_cndmask_b32_e32 v11, v11, v13, vcc
	v_cndmask_b32_e32 v10, v10, v12, vcc
	v_or_b32_e32 v12, 0x800, v16
	global_load_dword v9, v[10:11], off
	v_lshlrev_b32_e32 v10, 2, v12
	v_add_co_u32_e32 v13, vcc, v24, v10
	v_sub_u32_e32 v10, v12, v20
	v_ashrrev_i32_e32 v11, 31, v10
	v_addc_co_u32_e32 v14, vcc, 0, v25, vcc
	v_lshlrev_b64 v[10:11], 2, v[10:11]
	v_add_co_u32_e32 v10, vcc, v22, v10
	v_addc_co_u32_e32 v11, vcc, v23, v11, vcc
	v_cmp_lt_i32_e32 vcc, v12, v20
	v_cndmask_b32_e32 v11, v11, v14, vcc
	v_cndmask_b32_e32 v10, v10, v13, vcc
	global_load_dword v10, v[10:11], off
	v_add_u32_e32 v11, 0x900, v16
	s_movk_i32 s0, 0x2400
	v_sub_u32_e32 v12, v11, v20
	v_add_co_u32_e32 v14, vcc, s0, v2
	v_ashrrev_i32_e32 v13, 31, v12
	v_addc_co_u32_e32 v15, vcc, 0, v1, vcc
	v_lshlrev_b64 v[12:13], 2, v[12:13]
	v_add_co_u32_e32 v12, vcc, v22, v12
	v_addc_co_u32_e32 v13, vcc, v23, v13, vcc
	v_cmp_lt_i32_e32 vcc, v11, v20
	v_cndmask_b32_e32 v13, v13, v15, vcc
	v_cndmask_b32_e32 v12, v12, v14, vcc
	v_add_u32_e32 v14, 0xa00, v16
	global_load_dword v11, v[12:13], off
	s_movk_i32 s0, 0x2800
	v_sub_u32_e32 v12, v14, v20
	v_add_co_u32_e32 v15, vcc, s0, v2
	v_ashrrev_i32_e32 v13, 31, v12
	v_addc_co_u32_e32 v17, vcc, 0, v1, vcc
	v_lshlrev_b64 v[12:13], 2, v[12:13]
	v_add_co_u32_e32 v12, vcc, v22, v12
	v_addc_co_u32_e32 v13, vcc, v23, v13, vcc
	v_cmp_lt_i32_e32 vcc, v14, v20
	v_cndmask_b32_e32 v13, v13, v17, vcc
	v_cndmask_b32_e32 v12, v12, v15, vcc
	global_load_dword v12, v[12:13], off
	v_add_u32_e32 v13, 0xb00, v16
	s_movk_i32 s0, 0x2c00
	v_sub_u32_e32 v14, v13, v20
	v_add_co_u32_e32 v17, vcc, s0, v2
	v_ashrrev_i32_e32 v15, 31, v14
	v_addc_co_u32_e32 v18, vcc, 0, v1, vcc
	v_lshlrev_b64 v[14:15], 2, v[14:15]
	v_add_co_u32_e32 v14, vcc, v22, v14
	v_addc_co_u32_e32 v15, vcc, v23, v15, vcc
	v_cmp_lt_i32_e32 vcc, v13, v20
	v_cndmask_b32_e32 v15, v15, v18, vcc
	v_cndmask_b32_e32 v14, v14, v17, vcc
	v_or_b32_e32 v17, 0xc00, v16
	global_load_dword v13, v[14:15], off
	v_lshlrev_b32_e32 v14, 2, v17
	v_add_co_u32_e32 v18, vcc, v24, v14
	v_sub_u32_e32 v14, v17, v20
	v_ashrrev_i32_e32 v15, 31, v14
	v_addc_co_u32_e32 v19, vcc, 0, v25, vcc
	v_lshlrev_b64 v[14:15], 2, v[14:15]
	v_add_co_u32_e32 v14, vcc, v22, v14
	v_addc_co_u32_e32 v15, vcc, v23, v15, vcc
	v_cmp_lt_i32_e32 vcc, v17, v20
	v_cndmask_b32_e32 v15, v15, v19, vcc
	v_cndmask_b32_e32 v14, v14, v18, vcc
	global_load_dword v14, v[14:15], off
	v_add_u32_e32 v15, 0xd00, v16
	s_movk_i32 s0, 0x3400
	v_sub_u32_e32 v18, v15, v20
	v_add_co_u32_e32 v17, vcc, s0, v2
	v_ashrrev_i32_e32 v19, 31, v18
	v_addc_co_u32_e32 v24, vcc, 0, v1, vcc
	v_lshlrev_b64 v[18:19], 2, v[18:19]
	v_add_co_u32_e32 v18, vcc, v22, v18
	v_addc_co_u32_e32 v19, vcc, v23, v19, vcc
	v_cmp_lt_i32_e32 vcc, v15, v20
	v_cndmask_b32_e32 v19, v19, v24, vcc
	v_cndmask_b32_e32 v18, v18, v17, vcc
	v_add_u32_e32 v17, 0xe00, v16
	global_load_dword v15, v[18:19], off
	s_movk_i32 s0, 0x3800
	v_sub_u32_e32 v18, v17, v20
	v_add_co_u32_e32 v24, vcc, s0, v2
	v_ashrrev_i32_e32 v19, 31, v18
	v_addc_co_u32_e32 v25, vcc, 0, v1, vcc
	v_lshlrev_b64 v[18:19], 2, v[18:19]
	v_add_co_u32_e32 v18, vcc, v22, v18
	v_addc_co_u32_e32 v19, vcc, v23, v19, vcc
	v_cmp_lt_i32_e32 vcc, v17, v20
	v_cndmask_b32_e32 v19, v19, v25, vcc
	v_cndmask_b32_e32 v18, v18, v24, vcc
	global_load_dword v19, v[18:19], off
	v_add_u32_e32 v24, 0xf00, v16
	v_add_u32_e32 v18, v21, v20
	v_mov_b32_e32 v17, 0
	v_cmp_lt_i32_e32 vcc, v24, v18
                                        ; implicit-def: $vgpr25
	s_and_saveexec_b64 s[0:1], vcc
	s_cbranch_execz .LBB23_211
; %bb.210:
	v_sub_u32_e32 v28, v24, v20
	v_add_co_u32_e32 v2, vcc, 0x3c00, v2
	v_ashrrev_i32_e32 v29, 31, v28
	v_addc_co_u32_e32 v1, vcc, 0, v1, vcc
	v_lshlrev_b64 v[28:29], 2, v[28:29]
	v_add_co_u32_e32 v22, vcc, v22, v28
	v_addc_co_u32_e32 v23, vcc, v23, v29, vcc
	v_cmp_lt_i32_e32 vcc, v24, v20
	v_cndmask_b32_e32 v23, v23, v1, vcc
	v_cndmask_b32_e32 v22, v22, v2, vcc
	global_load_dword v25, v[22:23], off
.LBB23_211:
	s_or_b64 exec, exec, s[0:1]
	s_waitcnt vmcnt(13)
	ds_write2st64_b32 v26, v0, v3 offset0:4 offset1:8
	s_waitcnt vmcnt(11)
	ds_write2st64_b32 v26, v4, v5 offset0:12 offset1:16
	;; [unrolled: 2-line block ×8, first 2 shown]
	v_lshlrev_b32_e32 v0, 4, v16
	v_min_i32_e32 v1, v18, v0
	v_sub_u32_e32 v0, v1, v21
	v_max_i32_e32 v0, 0, v0
	v_min_i32_e32 v3, v20, v1
	v_lshlrev_b32_e32 v2, 2, v20
	v_cmp_lt_i32_e32 vcc, v0, v3
	s_waitcnt lgkmcnt(0)
	s_barrier
	s_and_saveexec_b64 s[0:1], vcc
	s_cbranch_execz .LBB23_215
; %bb.212:
	v_lshl_add_u32 v4, v1, 2, v2
	v_add_u32_e32 v4, 0x400, v4
	s_mov_b64 s[2:3], 0
.LBB23_213:                             ; =>This Inner Loop Header: Depth=1
	v_add_u32_e32 v5, v3, v0
	v_ashrrev_i32_e32 v5, 1, v5
	v_not_b32_e32 v7, v5
	v_lshlrev_b32_e32 v6, 2, v5
	v_lshl_add_u32 v7, v7, 2, v4
	ds_read_b32 v6, v6 offset:1024
	ds_read_b32 v7, v7
	v_add_u32_e32 v8, 1, v5
	s_waitcnt lgkmcnt(0)
	v_cmp_lt_i32_e32 vcc, v7, v6
	v_cndmask_b32_e32 v3, v3, v5, vcc
	v_cndmask_b32_e32 v0, v8, v0, vcc
	v_cmp_ge_i32_e32 vcc, v0, v3
	s_or_b64 s[2:3], vcc, s[2:3]
	s_andn2_b64 exec, exec, s[2:3]
	s_cbranch_execnz .LBB23_213
; %bb.214:
	s_or_b64 exec, exec, s[2:3]
.LBB23_215:
	s_or_b64 exec, exec, s[0:1]
	v_sub_u32_e32 v5, v1, v0
	v_add_u32_e32 v22, 0x400, v26
	v_cmp_lt_i32_e32 vcc, v5, v21
	v_mov_b32_e32 v4, 0
	s_and_saveexec_b64 s[2:3], vcc
	s_cbranch_execz .LBB23_250
; %bb.216:
	v_lshl_add_u32 v6, v5, 2, v2
	ds_read_b32 v4, v6 offset:1024
	v_cmp_lt_i32_e32 vcc, 0, v0
	v_mov_b32_e32 v3, 0
	v_mov_b32_e32 v7, v0
	s_and_saveexec_b64 s[0:1], vcc
	s_cbranch_execnz .LBB23_226
; %bb.217:
	s_or_b64 exec, exec, s[0:1]
	v_cmp_lt_i32_e32 vcc, v3, v7
	s_and_saveexec_b64 s[0:1], vcc
	s_cbranch_execnz .LBB23_227
.LBB23_218:
	s_or_b64 exec, exec, s[0:1]
	v_cmp_lt_i32_e32 vcc, v3, v7
	s_and_saveexec_b64 s[0:1], vcc
	s_cbranch_execnz .LBB23_228
.LBB23_219:
	s_or_b64 exec, exec, s[0:1]
	v_cmp_lt_i32_e32 vcc, v3, v7
	s_and_saveexec_b64 s[0:1], vcc
	s_cbranch_execnz .LBB23_229
.LBB23_220:
	s_or_b64 exec, exec, s[0:1]
	v_cmp_lt_i32_e32 vcc, v3, v7
	s_and_saveexec_b64 s[0:1], vcc
	s_cbranch_execnz .LBB23_230
	s_branch .LBB23_233
.LBB23_221:
	v_lshlrev_b32_e32 v5, 2, v4
	v_add_u32_e32 v4, 1, v4
	ds_write_b32 v5, v28 offset:19456
	s_or_b64 exec, exec, s[20:21]
	s_and_saveexec_b64 s[20:21], s[18:19]
	s_cbranch_execz .LBB23_172
.LBB23_222:
	v_lshlrev_b32_e32 v5, 2, v4
	v_add_u32_e32 v4, 1, v4
	ds_write_b32 v5, v27 offset:19456
	s_or_b64 exec, exec, s[20:21]
	s_and_saveexec_b64 s[18:19], s[16:17]
	s_cbranch_execz .LBB23_173
.LBB23_223:
	v_lshlrev_b32_e32 v5, 2, v4
	v_add_u32_e32 v4, 1, v4
	ds_write_b32 v5, v29 offset:19456
	s_or_b64 exec, exec, s[18:19]
	s_and_saveexec_b64 s[16:17], s[6:7]
	s_cbranch_execz .LBB23_174
.LBB23_224:
	v_lshlrev_b32_e32 v5, 2, v4
	v_add_u32_e32 v4, 1, v4
	ds_write_b32 v5, v30 offset:19456
	s_or_b64 exec, exec, s[16:17]
	s_and_saveexec_b64 s[6:7], s[4:5]
	s_cbranch_execz .LBB23_175
.LBB23_225:
	v_lshlrev_b32_e32 v5, 2, v4
	v_add_u32_e32 v4, 1, v4
	ds_write_b32 v5, v31 offset:19456
	s_or_b64 exec, exec, s[6:7]
	s_and_saveexec_b64 s[4:5], s[2:3]
	s_cbranch_execnz .LBB23_176
	s_branch .LBB23_177
.LBB23_226:
	s_movk_i32 s4, 0x1ff
	v_mul_lo_u32 v3, v0, s4
	v_ashrrev_i32_e32 v7, 9, v3
	v_lshlrev_b32_e32 v3, 2, v7
	ds_read_b32 v3, v3 offset:1024
	v_add_u32_e32 v8, 1, v7
	s_waitcnt lgkmcnt(0)
	v_cmp_lt_i32_e32 vcc, v3, v4
	v_cndmask_b32_e32 v3, 0, v8, vcc
	v_cndmask_b32_e32 v7, v7, v0, vcc
	s_or_b64 exec, exec, s[0:1]
	v_cmp_lt_i32_e32 vcc, v3, v7
	s_and_saveexec_b64 s[0:1], vcc
	s_cbranch_execz .LBB23_218
.LBB23_227:
	v_sub_u32_e32 v8, v3, v7
	v_lshl_add_u32 v8, v7, 7, v8
	v_ashrrev_i32_e32 v8, 7, v8
	v_lshlrev_b32_e32 v9, 2, v8
	ds_read_b32 v9, v9 offset:1024
	v_add_u32_e32 v10, 1, v8
	s_waitcnt lgkmcnt(0)
	v_cmp_lt_i32_e32 vcc, v9, v4
	v_cndmask_b32_e32 v3, v3, v10, vcc
	v_cndmask_b32_e32 v7, v8, v7, vcc
	s_or_b64 exec, exec, s[0:1]
	v_cmp_lt_i32_e32 vcc, v3, v7
	s_and_saveexec_b64 s[0:1], vcc
	s_cbranch_execz .LBB23_219
.LBB23_228:
	v_sub_u32_e32 v8, v3, v7
	v_lshl_add_u32 v8, v7, 5, v8
	v_ashrrev_i32_e32 v8, 5, v8
	v_lshlrev_b32_e32 v9, 2, v8
	ds_read_b32 v9, v9 offset:1024
	v_add_u32_e32 v10, 1, v8
	s_waitcnt lgkmcnt(0)
	v_cmp_lt_i32_e32 vcc, v9, v4
	v_cndmask_b32_e32 v3, v3, v10, vcc
	v_cndmask_b32_e32 v7, v8, v7, vcc
	s_or_b64 exec, exec, s[0:1]
	v_cmp_lt_i32_e32 vcc, v3, v7
	s_and_saveexec_b64 s[0:1], vcc
	s_cbranch_execz .LBB23_220
.LBB23_229:
	v_sub_u32_e32 v8, v3, v7
	v_lshl_add_u32 v8, v7, 4, v8
	v_ashrrev_i32_e32 v8, 4, v8
	v_lshlrev_b32_e32 v9, 2, v8
	ds_read_b32 v9, v9 offset:1024
	v_add_u32_e32 v10, 1, v8
	s_waitcnt lgkmcnt(0)
	v_cmp_lt_i32_e32 vcc, v9, v4
	v_cndmask_b32_e32 v3, v3, v10, vcc
	v_cndmask_b32_e32 v7, v8, v7, vcc
	s_or_b64 exec, exec, s[0:1]
	v_cmp_lt_i32_e32 vcc, v3, v7
	s_and_saveexec_b64 s[0:1], vcc
	s_cbranch_execz .LBB23_233
.LBB23_230:
	s_mov_b64 s[4:5], 0
.LBB23_231:                             ; =>This Inner Loop Header: Depth=1
	v_sub_u32_e32 v8, v3, v7
	v_lshl_add_u32 v8, v7, 1, v8
	v_ashrrev_i32_e32 v8, 1, v8
	v_lshlrev_b32_e32 v9, 2, v8
	ds_read_b32 v9, v9 offset:1024
	v_add_u32_e32 v10, 1, v8
	s_waitcnt lgkmcnt(0)
	v_cmp_lt_i32_e32 vcc, v9, v4
	v_cndmask_b32_e32 v3, v3, v10, vcc
	v_cndmask_b32_e32 v7, v8, v7, vcc
	v_cmp_ge_i32_e32 vcc, v3, v7
	s_or_b64 s[4:5], vcc, s[4:5]
	s_andn2_b64 exec, exec, s[4:5]
	s_cbranch_execnz .LBB23_231
; %bb.232:
	s_or_b64 exec, exec, s[4:5]
.LBB23_233:
	s_or_b64 exec, exec, s[0:1]
	v_add_u32_e32 v6, 0x400, v6
	v_cmp_lt_i32_e32 vcc, 0, v5
	v_mov_b32_e32 v7, 0
	v_mov_b32_e32 v8, v5
	s_and_saveexec_b64 s[0:1], vcc
	s_cbranch_execnz .LBB23_238
; %bb.234:
	s_or_b64 exec, exec, s[0:1]
	v_cmp_lt_i32_e32 vcc, v7, v8
	s_and_saveexec_b64 s[0:1], vcc
	s_cbranch_execnz .LBB23_239
.LBB23_235:
	s_or_b64 exec, exec, s[0:1]
	v_cmp_lt_i32_e32 vcc, v7, v8
	s_and_saveexec_b64 s[0:1], vcc
	s_cbranch_execnz .LBB23_240
.LBB23_236:
	s_or_b64 exec, exec, s[0:1]
	v_cmp_lt_i32_e32 vcc, v7, v8
	s_and_saveexec_b64 s[0:1], vcc
	s_cbranch_execnz .LBB23_241
.LBB23_237:
	s_or_b64 exec, exec, s[0:1]
	v_cmp_lt_i32_e32 vcc, v7, v8
	s_and_saveexec_b64 s[0:1], vcc
	s_cbranch_execnz .LBB23_242
	s_branch .LBB23_245
.LBB23_238:
	s_movk_i32 s4, 0x1ff
	v_mul_lo_u32 v7, v5, s4
	v_ashrrev_i32_e32 v8, 9, v7
	v_lshl_add_u32 v7, v8, 2, v2
	ds_read_b32 v7, v7 offset:1024
	v_add_u32_e32 v9, 1, v8
	s_waitcnt lgkmcnt(0)
	v_cmp_lt_i32_e32 vcc, v7, v4
	v_cndmask_b32_e32 v7, 0, v9, vcc
	v_cndmask_b32_e32 v8, v8, v5, vcc
	s_or_b64 exec, exec, s[0:1]
	v_cmp_lt_i32_e32 vcc, v7, v8
	s_and_saveexec_b64 s[0:1], vcc
	s_cbranch_execz .LBB23_235
.LBB23_239:
	v_sub_u32_e32 v9, v7, v8
	v_lshl_add_u32 v9, v8, 7, v9
	v_ashrrev_i32_e32 v9, 7, v9
	v_lshl_add_u32 v10, v9, 2, v2
	ds_read_b32 v10, v10 offset:1024
	v_add_u32_e32 v11, 1, v9
	s_waitcnt lgkmcnt(0)
	v_cmp_lt_i32_e32 vcc, v10, v4
	v_cndmask_b32_e32 v7, v7, v11, vcc
	v_cndmask_b32_e32 v8, v9, v8, vcc
	s_or_b64 exec, exec, s[0:1]
	v_cmp_lt_i32_e32 vcc, v7, v8
	s_and_saveexec_b64 s[0:1], vcc
	s_cbranch_execz .LBB23_236
.LBB23_240:
	v_sub_u32_e32 v9, v7, v8
	v_lshl_add_u32 v9, v8, 5, v9
	v_ashrrev_i32_e32 v9, 5, v9
	v_lshl_add_u32 v10, v9, 2, v2
	ds_read_b32 v10, v10 offset:1024
	v_add_u32_e32 v11, 1, v9
	s_waitcnt lgkmcnt(0)
	v_cmp_lt_i32_e32 vcc, v10, v4
	v_cndmask_b32_e32 v7, v7, v11, vcc
	v_cndmask_b32_e32 v8, v9, v8, vcc
	s_or_b64 exec, exec, s[0:1]
	v_cmp_lt_i32_e32 vcc, v7, v8
	s_and_saveexec_b64 s[0:1], vcc
	s_cbranch_execz .LBB23_237
.LBB23_241:
	v_sub_u32_e32 v9, v7, v8
	v_lshl_add_u32 v9, v8, 4, v9
	v_ashrrev_i32_e32 v9, 4, v9
	v_lshl_add_u32 v10, v9, 2, v2
	ds_read_b32 v10, v10 offset:1024
	v_add_u32_e32 v11, 1, v9
	s_waitcnt lgkmcnt(0)
	v_cmp_lt_i32_e32 vcc, v10, v4
	v_cndmask_b32_e32 v7, v7, v11, vcc
	v_cndmask_b32_e32 v8, v9, v8, vcc
	s_or_b64 exec, exec, s[0:1]
	v_cmp_lt_i32_e32 vcc, v7, v8
	s_and_saveexec_b64 s[0:1], vcc
	s_cbranch_execz .LBB23_245
.LBB23_242:
	v_add_u32_e32 v9, 0x400, v2
	s_mov_b64 s[4:5], 0
.LBB23_243:                             ; =>This Inner Loop Header: Depth=1
	v_sub_u32_e32 v10, v7, v8
	v_lshl_add_u32 v10, v8, 1, v10
	v_ashrrev_i32_e32 v10, 1, v10
	v_lshl_add_u32 v11, v10, 2, v9
	ds_read_b32 v11, v11
	v_add_u32_e32 v12, 1, v10
	s_waitcnt lgkmcnt(0)
	v_cmp_lt_i32_e32 vcc, v11, v4
	v_cndmask_b32_e32 v7, v7, v12, vcc
	v_cndmask_b32_e32 v8, v10, v8, vcc
	v_cmp_ge_i32_e32 vcc, v7, v8
	s_or_b64 s[4:5], vcc, s[4:5]
	s_andn2_b64 exec, exec, s[4:5]
	s_cbranch_execnz .LBB23_243
; %bb.244:
	s_or_b64 exec, exec, s[4:5]
.LBB23_245:
	s_or_b64 exec, exec, s[0:1]
	v_sub_u32_e32 v0, v0, v3
	v_sub_u32_e32 v9, v5, v7
	v_add_u32_e32 v8, v9, v0
	v_ashrrev_i32_e32 v0, 1, v8
	v_max_i32_e32 v0, v0, v9
	v_add3_u32 v7, v7, v0, 1
	v_min_i32_e32 v7, v7, v21
	v_sub_u32_e32 v7, v7, v5
	v_cmp_lt_i32_e32 vcc, 0, v7
	v_mov_b32_e32 v5, 0
	s_and_saveexec_b64 s[0:1], vcc
	s_cbranch_execz .LBB23_249
; %bb.246:
	s_mov_b64 s[4:5], 0
	v_mov_b32_e32 v5, 0
.LBB23_247:                             ; =>This Inner Loop Header: Depth=1
	v_add_u32_e32 v10, v5, v7
	v_ashrrev_i32_e32 v10, 1, v10
	v_lshl_add_u32 v11, v10, 2, v6
	ds_read_b32 v11, v11
	v_add_u32_e32 v12, 1, v10
	s_waitcnt lgkmcnt(0)
	v_cmp_gt_i32_e32 vcc, v11, v4
	v_cndmask_b32_e32 v5, v12, v5, vcc
	v_cndmask_b32_e32 v7, v7, v10, vcc
	v_cmp_ge_i32_e32 vcc, v5, v7
	s_or_b64 s[4:5], vcc, s[4:5]
	s_andn2_b64 exec, exec, s[4:5]
	s_cbranch_execnz .LBB23_247
; %bb.248:
	s_or_b64 exec, exec, s[4:5]
.LBB23_249:
	s_or_b64 exec, exec, s[0:1]
	s_waitcnt lgkmcnt(0)
	v_add_u32_e32 v4, v5, v9
	v_min_i32_e32 v5, v4, v0
	v_sub_u32_e32 v6, v8, v5
	v_add_u32_e32 v5, 1, v5
	v_cmp_eq_u32_e32 vcc, v6, v5
	v_cmp_lt_i32_e64 s[0:1], v0, v4
	s_and_b64 s[0:1], s[0:1], vcc
	v_cndmask_b32_e64 v4, 0, 1, s[0:1]
	v_add_u32_e32 v0, v6, v3
.LBB23_250:
	s_or_b64 exec, exec, s[2:3]
	v_add_u32_e32 v1, v4, v1
	v_sub_u32_e32 v1, v1, v0
	v_lshlrev_b32_e32 v3, 16, v20
	v_or_b32_e32 v3, v3, v21
	v_lshl_or_b32 v4, v0, 16, v1
	v_cmp_eq_u32_e64 s[0:1], 0, v16
	v_cndmask_b32_e64 v3, v4, v3, s[0:1]
	v_add_u32_e32 v4, -1, v16
	v_mov_b32_e32 v5, 0xff
	v_cndmask_b32_e64 v4, v4, v5, s[0:1]
	v_lshlrev_b32_e32 v4, 2, v4
	v_lshlrev_b32_e32 v5, 2, v0
	v_lshl_add_u32 v2, v1, 2, v2
	ds_write_b32 v4, v3
	s_waitcnt lgkmcnt(0)
	s_barrier
	ds_read_b32 v23, v5 offset:1024
	ds_read_b32 v3, v2 offset:1024
	ds_read_b32 v2, v26
	v_mov_b32_e32 v4, v0
	s_waitcnt lgkmcnt(2)
	v_mov_b32_e32 v21, v23
	s_waitcnt lgkmcnt(1)
	v_cmp_ge_i32_e32 vcc, v3, v23
	s_and_saveexec_b64 s[2:3], vcc
	s_cbranch_execz .LBB23_252
; %bb.251:
	ds_read_b32 v21, v5 offset:1028
	v_add_u32_e32 v4, 1, v0
.LBB23_252:
	s_or_b64 exec, exec, s[2:3]
	v_add_u32_e32 v5, v1, v20
	v_cmp_ge_i32_e32 vcc, v23, v3
	v_mov_b32_e32 v6, v3
	s_and_saveexec_b64 s[2:3], vcc
	s_cbranch_execz .LBB23_254
; %bb.253:
	v_lshlrev_b32_e32 v6, 2, v5
	ds_read_b32 v6, v6 offset:1028
	v_add_u32_e32 v5, 1, v5
.LBB23_254:
	s_or_b64 exec, exec, s[2:3]
	s_waitcnt lgkmcnt(0)
	v_cmp_ge_i32_e32 vcc, v6, v21
	v_mov_b32_e32 v24, v21
	v_mov_b32_e32 v7, v4
	s_and_saveexec_b64 s[2:3], vcc
	s_cbranch_execz .LBB23_256
; %bb.255:
	v_lshlrev_b32_e32 v7, 2, v4
	ds_read_b32 v24, v7 offset:1028
	v_add_u32_e32 v7, 1, v4
.LBB23_256:
	s_or_b64 exec, exec, s[2:3]
	v_cmp_ge_i32_e32 vcc, v21, v6
	v_mov_b32_e32 v8, v6
	v_mov_b32_e32 v9, v5
	s_and_saveexec_b64 s[2:3], vcc
	s_cbranch_execz .LBB23_258
; %bb.257:
	v_lshlrev_b32_e32 v8, 2, v5
	ds_read_b32 v8, v8 offset:1028
	v_add_u32_e32 v9, 1, v5
.LBB23_258:
	s_or_b64 exec, exec, s[2:3]
	s_waitcnt lgkmcnt(0)
	v_cmp_ge_i32_e32 vcc, v8, v24
	v_mov_b32_e32 v25, v24
	v_mov_b32_e32 v10, v7
	s_and_saveexec_b64 s[2:3], vcc
	s_cbranch_execz .LBB23_260
; %bb.259:
	v_lshlrev_b32_e32 v10, 2, v7
	ds_read_b32 v25, v10 offset:1028
	v_add_u32_e32 v10, 1, v7
.LBB23_260:
	s_or_b64 exec, exec, s[2:3]
	v_cmp_ge_i32_e32 vcc, v24, v8
	v_mov_b32_e32 v11, v8
	;; [unrolled: 23-line block ×14, first 2 shown]
	v_mov_b32_e32 v68, v66
	s_and_saveexec_b64 s[2:3], vcc
	s_cbranch_execz .LBB23_310
; %bb.309:
	v_lshlrev_b32_e32 v68, 2, v66
	ds_read_b32 v69, v68 offset:1028
	v_add_u32_e32 v68, 1, v66
.LBB23_310:
	s_or_b64 exec, exec, s[2:3]
	v_add_u32_sdwa v20, v2, v20 dst_sel:DWORD dst_unused:UNUSED_PAD src0_sel:WORD_0 src1_sel:DWORD
	v_cmp_ge_i32_sdwa s[4:5], v67, sext(v2) src0_sel:DWORD src1_sel:WORD_1
	v_cmp_ge_i32_e64 s[2:3], v68, v20
	s_waitcnt lgkmcnt(0)
	v_cmp_ne_u32_e32 vcc, v69, v38
	s_or_b64 s[2:3], s[4:5], s[2:3]
	v_mov_b32_e32 v67, 0x8000
	s_or_b64 s[2:3], vcc, s[2:3]
	v_cndmask_b32_e64 v67, v67, 0, s[2:3]
	v_cmp_ge_i32_sdwa s[4:5], v64, sext(v2) src0_sel:DWORD src1_sel:WORD_1
	v_cmp_ge_i32_e64 s[2:3], v66, v20
	v_cmp_ne_u32_e32 vcc, v65, v37
	s_or_b64 s[2:3], s[4:5], s[2:3]
	v_mov_b32_e32 v64, 0x4000
	s_or_b64 s[2:3], vcc, s[2:3]
	v_cndmask_b32_e64 v64, v64, 0, s[2:3]
	v_cmp_ge_i32_sdwa s[4:5], v61, sext(v2) src0_sel:DWORD src1_sel:WORD_1
	v_cmp_ge_i32_e64 s[2:3], v63, v20
	;; [unrolled: 7-line block ×9, first 2 shown]
	v_cmp_ne_u32_e32 vcc, v41, v29
	s_or_b64 s[2:3], s[4:5], s[2:3]
	s_or_b64 s[2:3], vcc, s[2:3]
	v_cndmask_b32_e64 v40, 64, 0, s[2:3]
	v_cmp_ge_i32_sdwa s[4:5], v18, sext(v2) src0_sel:DWORD src1_sel:WORD_1
	v_cmp_ge_i32_e64 s[2:3], v39, v20
	v_cmp_ne_u32_e32 vcc, v19, v28
	s_or_b64 s[2:3], s[4:5], s[2:3]
	s_or_b64 s[10:11], vcc, s[2:3]
	v_cmp_ge_i32_sdwa s[6:7], v13, sext(v2) src0_sel:DWORD src1_sel:WORD_1
	v_cmp_ge_i32_e64 s[2:3], v15, v20
	v_cmp_ne_u32_e32 vcc, v14, v27
	s_or_b64 s[2:3], s[6:7], s[2:3]
	s_or_b64 s[16:17], vcc, s[2:3]
	;; [unrolled: 5-line block ×5, first 2 shown]
	v_cmp_gt_i32_sdwa s[2:3], sext(v2), v0 src0_sel:WORD_1 src1_sel:DWORD
	v_cmp_gt_i32_sdwa s[6:7], v2, v1 src0_sel:WORD_0 src1_sel:DWORD
	v_cmp_eq_u32_e32 vcc, v3, v23
	s_and_b64 s[2:3], s[2:3], s[6:7]
	s_and_b64 s[22:23], s[2:3], vcc
	v_cndmask_b32_e64 v7, 4, 0, s[20:21]
	v_cndmask_b32_e64 v4, 2, 0, s[24:25]
	v_cndmask_b32_e64 v0, 0, 1, s[22:23]
	v_cndmask_b32_e64 v13, 16, 0, s[16:17]
	v_cndmask_b32_e64 v10, 8, 0, s[18:19]
	v_or3_b32 v0, v4, v0, v7
	v_cndmask_b32_e64 v18, 32, 0, s[10:11]
	v_or3_b32 v0, v0, v10, v13
	v_or3_b32 v43, v0, v18, v40
	v_or_b32_e32 v42, v44, v43
	v_or3_b32 v41, v46, v49, v42
	v_or3_b32 v40, v52, v55, v41
	;; [unrolled: 1-line block ×4, first 2 shown]
	s_mov_b64 s[4:5], -1
	v_bcnt_u32_b32 v8, v20, 0
	v_mov_b32_e32 v9, 0
	s_cmp_lg_u32 s14, 0
	v_mbcnt_lo_u32_b32 v44, -1, 0
	s_barrier
	s_cbranch_scc0 .LBB23_339
; %bb.311:
	v_mov_b32_dpp v1, v8 row_shr:1 row_mask:0xf bank_mask:0xf
	v_add_co_u32_e32 v1, vcc, v1, v8
	v_mbcnt_hi_u32_b32 v18, -1, v44
	v_mov_b32_dpp v2, v9 row_shr:1 row_mask:0xf bank_mask:0xf
	v_addc_co_u32_e64 v3, s[2:3], 0, 0, vcc
	v_add_co_u32_e32 v4, vcc, 0, v1
	v_and_b32_e32 v0, 15, v18
	v_addc_co_u32_e32 v2, vcc, v2, v3, vcc
	v_cmp_eq_u32_e32 vcc, 0, v0
	v_cndmask_b32_e32 v1, v1, v8, vcc
	v_cndmask_b32_e64 v2, v2, 0, vcc
	v_cndmask_b32_e32 v3, v4, v8, vcc
	v_mov_b32_dpp v4, v1 row_shr:2 row_mask:0xf bank_mask:0xf
	v_mov_b32_dpp v5, v2 row_shr:2 row_mask:0xf bank_mask:0xf
	v_add_co_u32_e32 v4, vcc, v4, v3
	v_addc_co_u32_e32 v5, vcc, v5, v2, vcc
	v_cmp_lt_u32_e32 vcc, 1, v0
	v_cndmask_b32_e32 v1, v1, v4, vcc
	v_cndmask_b32_e32 v2, v2, v5, vcc
	v_cndmask_b32_e32 v3, v3, v4, vcc
	v_mov_b32_dpp v4, v1 row_shr:4 row_mask:0xf bank_mask:0xf
	v_mov_b32_dpp v5, v2 row_shr:4 row_mask:0xf bank_mask:0xf
	v_add_co_u32_e32 v4, vcc, v4, v3
	v_addc_co_u32_e32 v5, vcc, v5, v2, vcc
	v_cmp_lt_u32_e32 vcc, 3, v0
	v_cndmask_b32_e32 v1, v1, v4, vcc
	v_cndmask_b32_e32 v2, v2, v5, vcc
	;; [unrolled: 8-line block ×3, first 2 shown]
	v_cndmask_b32_e32 v2, v4, v6, vcc
	v_mov_b32_dpp v1, v0 row_bcast:15 row_mask:0xf bank_mask:0xf
	v_mov_b32_dpp v5, v3 row_bcast:15 row_mask:0xf bank_mask:0xf
	v_add_co_u32_e32 v4, vcc, v1, v2
	v_and_b32_e32 v7, 16, v18
	v_addc_co_u32_e32 v6, vcc, v5, v3, vcc
	v_cmp_eq_u32_e32 vcc, 0, v7
	v_cndmask_b32_e32 v1, v6, v3, vcc
	v_cndmask_b32_e32 v0, v4, v0, vcc
	v_cmp_eq_u32_e64 s[2:3], 0, v18
	v_mov_b32_dpp v7, v1 row_bcast:31 row_mask:0xf bank_mask:0xf
	v_mov_b32_dpp v5, v0 row_bcast:31 row_mask:0xf bank_mask:0xf
	v_cmp_ne_u32_e64 s[4:5], 0, v18
	v_pk_mov_b32 v[0:1], v[8:9], v[8:9] op_sel:[0,1]
	s_and_saveexec_b64 s[6:7], s[4:5]
; %bb.312:
	v_cndmask_b32_e32 v1, v6, v3, vcc
	v_cndmask_b32_e32 v0, v4, v2, vcc
	v_cmp_lt_u32_e32 vcc, 31, v18
	v_cndmask_b32_e32 v3, 0, v5, vcc
	v_cndmask_b32_e32 v2, 0, v7, vcc
	v_add_co_u32_e32 v0, vcc, v3, v0
	v_addc_co_u32_e32 v1, vcc, v2, v1, vcc
; %bb.313:
	s_or_b64 exec, exec, s[6:7]
	v_and_b32_e32 v3, 0x3c0, v16
	v_min_u32_e32 v3, 0xc0, v3
	v_or_b32_e32 v3, 63, v3
	v_lshrrev_b32_e32 v2, 6, v16
	v_cmp_eq_u32_e32 vcc, v3, v16
	s_and_saveexec_b64 s[4:5], vcc
	s_cbranch_execz .LBB23_315
; %bb.314:
	v_lshlrev_b32_e32 v3, 3, v2
	ds_write_b64 v3, v[0:1]
.LBB23_315:
	s_or_b64 exec, exec, s[4:5]
	v_cmp_gt_u32_e32 vcc, 4, v16
	s_waitcnt lgkmcnt(0)
	s_barrier
	s_and_saveexec_b64 s[6:7], vcc
	s_cbranch_execz .LBB23_317
; %bb.316:
	v_lshlrev_b32_e32 v1, 3, v16
	ds_read_b64 v[4:5], v1
	v_and_b32_e32 v3, 3, v18
	v_cmp_ne_u32_e64 s[4:5], 1, v3
	s_waitcnt lgkmcnt(0)
	v_mov_b32_dpp v6, v4 row_shr:1 row_mask:0xf bank_mask:0xf
	v_add_co_u32_e32 v6, vcc, v4, v6
	v_addc_co_u32_e32 v10, vcc, 0, v5, vcc
	v_mov_b32_dpp v7, v5 row_shr:1 row_mask:0xf bank_mask:0xf
	v_add_co_u32_e32 v11, vcc, 0, v6
	v_addc_co_u32_e32 v7, vcc, v7, v10, vcc
	v_cmp_eq_u32_e32 vcc, 0, v3
	v_cndmask_b32_e32 v6, v6, v4, vcc
	v_cndmask_b32_e32 v10, v7, v5, vcc
	s_nop 0
	v_mov_b32_dpp v6, v6 row_shr:2 row_mask:0xf bank_mask:0xf
	v_mov_b32_dpp v10, v10 row_shr:2 row_mask:0xf bank_mask:0xf
	v_cndmask_b32_e64 v3, 0, v6, s[4:5]
	v_cndmask_b32_e64 v6, 0, v10, s[4:5]
	v_add_co_u32_e64 v3, s[4:5], v3, v11
	v_addc_co_u32_e64 v6, s[4:5], v6, v7, s[4:5]
	v_cndmask_b32_e32 v5, v6, v5, vcc
	v_cndmask_b32_e32 v4, v3, v4, vcc
	ds_write_b64 v1, v[4:5]
.LBB23_317:
	s_or_b64 exec, exec, s[6:7]
	v_cmp_gt_u32_e32 vcc, 64, v16
	v_cmp_lt_u32_e64 s[4:5], 63, v16
	s_waitcnt lgkmcnt(0)
	s_barrier
	s_waitcnt lgkmcnt(0)
                                        ; implicit-def: $vgpr10_vgpr11
	s_and_saveexec_b64 s[6:7], s[4:5]
	s_cbranch_execz .LBB23_319
; %bb.318:
	v_lshl_add_u32 v1, v2, 3, -8
	ds_read_b64 v[10:11], v1
	s_waitcnt lgkmcnt(0)
	v_add_co_u32_e64 v0, s[4:5], v10, v0
.LBB23_319:
	s_or_b64 exec, exec, s[6:7]
	v_add_u32_e32 v1, -1, v18
	v_and_b32_e32 v2, 64, v18
	v_cmp_lt_i32_e64 s[4:5], v1, v2
	v_cndmask_b32_e64 v1, v1, v18, s[4:5]
	v_lshlrev_b32_e32 v1, 2, v1
	ds_bpermute_b32 v11, v1, v0
	s_and_saveexec_b64 s[26:27], vcc
	s_cbranch_execz .LBB23_338
; %bb.320:
	v_mov_b32_e32 v3, 0
	ds_read_b64 v[0:1], v3 offset:24
	s_and_saveexec_b64 s[4:5], s[2:3]
	s_cbranch_execz .LBB23_322
; %bb.321:
	s_add_i32 s6, s14, 64
	s_mov_b32 s7, 0
	s_lshl_b64 s[6:7], s[6:7], 4
	s_add_u32 s6, s12, s6
	s_addc_u32 s7, s13, s7
	v_mov_b32_e32 v2, 1
	v_pk_mov_b32 v[4:5], s[6:7], s[6:7] op_sel:[0,1]
	s_waitcnt lgkmcnt(0)
	;;#ASMSTART
	global_store_dwordx4 v[4:5], v[0:3] off	
s_waitcnt vmcnt(0)
	;;#ASMEND
.LBB23_322:
	s_or_b64 exec, exec, s[4:5]
	v_xad_u32 v12, v18, -1, s14
	v_add_u32_e32 v2, 64, v12
	v_lshlrev_b64 v[4:5], 4, v[2:3]
	v_mov_b32_e32 v2, s13
	v_add_co_u32_e32 v14, vcc, s12, v4
	v_addc_co_u32_e32 v15, vcc, v2, v5, vcc
	;;#ASMSTART
	global_load_dwordx4 v[4:7], v[14:15] off glc	
s_waitcnt vmcnt(0)
	;;#ASMEND
	v_and_b32_e32 v2, 0xff, v5
	v_and_b32_e32 v7, 0xff00, v5
	v_and_b32_e32 v13, 0xff0000, v5
	v_or3_b32 v2, 0, v2, v7
	v_or3_b32 v4, v4, 0, 0
	v_and_b32_e32 v5, 0xff000000, v5
	v_or3_b32 v5, v2, v13, v5
	v_or3_b32 v4, v4, 0, 0
	v_cmp_eq_u16_sdwa s[6:7], v6, v3 src0_sel:BYTE_0 src1_sel:DWORD
	s_and_saveexec_b64 s[4:5], s[6:7]
	s_cbranch_execz .LBB23_326
; %bb.323:
	s_mov_b64 s[6:7], 0
	v_mov_b32_e32 v2, 0
.LBB23_324:                             ; =>This Inner Loop Header: Depth=1
	;;#ASMSTART
	global_load_dwordx4 v[4:7], v[14:15] off glc	
s_waitcnt vmcnt(0)
	;;#ASMEND
	v_cmp_ne_u16_sdwa s[28:29], v6, v2 src0_sel:BYTE_0 src1_sel:DWORD
	s_or_b64 s[6:7], s[28:29], s[6:7]
	s_andn2_b64 exec, exec, s[6:7]
	s_cbranch_execnz .LBB23_324
; %bb.325:
	s_or_b64 exec, exec, s[6:7]
.LBB23_326:
	s_or_b64 exec, exec, s[4:5]
	v_and_b32_e32 v46, 63, v18
	v_mov_b32_e32 v45, 2
	v_cmp_ne_u32_e32 vcc, 63, v46
	v_cmp_eq_u16_sdwa s[4:5], v6, v45 src0_sel:BYTE_0 src1_sel:DWORD
	v_lshlrev_b64 v[14:15], v18, -1
	v_addc_co_u32_e32 v7, vcc, 0, v18, vcc
	v_and_b32_e32 v2, s5, v15
	v_lshlrev_b32_e32 v47, 2, v7
	v_or_b32_e32 v2, 0x80000000, v2
	ds_bpermute_b32 v7, v47, v4
	v_and_b32_e32 v3, s4, v14
	v_ffbl_b32_e32 v2, v2
	v_add_u32_e32 v2, 32, v2
	v_ffbl_b32_e32 v3, v3
	v_min_u32_e32 v2, v3, v2
	ds_bpermute_b32 v3, v47, v5
	s_waitcnt lgkmcnt(1)
	v_add_co_u32_e32 v7, vcc, v4, v7
	v_addc_co_u32_e32 v19, vcc, 0, v5, vcc
	v_add_co_u32_e32 v49, vcc, 0, v7
	v_cmp_gt_u32_e64 s[4:5], 62, v46
	s_waitcnt lgkmcnt(0)
	v_addc_co_u32_e32 v3, vcc, v3, v19, vcc
	v_cndmask_b32_e64 v19, 0, 1, s[4:5]
	v_cmp_lt_u32_e32 vcc, v46, v2
	v_lshlrev_b32_e32 v19, 1, v19
	v_cndmask_b32_e32 v7, v4, v7, vcc
	v_add_lshl_u32 v48, v19, v18, 2
	v_cndmask_b32_e32 v3, v5, v3, vcc
	ds_bpermute_b32 v19, v48, v7
	ds_bpermute_b32 v50, v48, v3
	v_cndmask_b32_e32 v51, v4, v49, vcc
	v_add_u32_e32 v49, 2, v46
	v_cmp_gt_u32_e64 s[6:7], 60, v46
	s_waitcnt lgkmcnt(1)
	v_add_co_u32_e64 v19, s[4:5], v19, v51
	s_waitcnt lgkmcnt(0)
	v_addc_co_u32_e64 v50, s[4:5], v50, v3, s[4:5]
	v_cmp_gt_u32_e64 s[4:5], v49, v2
	v_cndmask_b32_e64 v3, v50, v3, s[4:5]
	v_cndmask_b32_e64 v50, 0, 1, s[6:7]
	v_lshlrev_b32_e32 v50, 2, v50
	v_cndmask_b32_e64 v7, v19, v7, s[4:5]
	v_add_lshl_u32 v50, v50, v18, 2
	ds_bpermute_b32 v52, v50, v7
	ds_bpermute_b32 v53, v50, v3
	v_cndmask_b32_e64 v19, v19, v51, s[4:5]
	v_add_u32_e32 v51, 4, v46
	v_cmp_gt_u32_e64 s[6:7], 56, v46
	s_waitcnt lgkmcnt(1)
	v_add_co_u32_e64 v54, s[4:5], v52, v19
	s_waitcnt lgkmcnt(0)
	v_addc_co_u32_e64 v52, s[4:5], v53, v3, s[4:5]
	v_cmp_gt_u32_e64 s[4:5], v51, v2
	v_cndmask_b32_e64 v3, v52, v3, s[4:5]
	v_cndmask_b32_e64 v52, 0, 1, s[6:7]
	v_lshlrev_b32_e32 v52, 3, v52
	v_cndmask_b32_e64 v7, v54, v7, s[4:5]
	v_add_lshl_u32 v52, v52, v18, 2
	ds_bpermute_b32 v55, v52, v7
	v_cndmask_b32_e64 v19, v54, v19, s[4:5]
	ds_bpermute_b32 v54, v52, v3
	v_add_u32_e32 v53, 8, v46
	v_cmp_gt_u32_e64 s[6:7], 48, v46
	s_waitcnt lgkmcnt(1)
	v_add_co_u32_e64 v55, s[4:5], v55, v19
	s_waitcnt lgkmcnt(0)
	v_addc_co_u32_e64 v54, s[4:5], v54, v3, s[4:5]
	v_cmp_gt_u32_e64 s[4:5], v53, v2
	v_cndmask_b32_e64 v3, v54, v3, s[4:5]
	v_cndmask_b32_e64 v54, 0, 1, s[6:7]
	v_lshlrev_b32_e32 v54, 4, v54
	v_cndmask_b32_e64 v7, v55, v7, s[4:5]
	v_add_lshl_u32 v54, v54, v18, 2
	ds_bpermute_b32 v56, v54, v7
	ds_bpermute_b32 v57, v54, v3
	v_cndmask_b32_e64 v19, v55, v19, s[4:5]
	v_cmp_gt_u32_e64 s[6:7], 32, v46
	v_add_u32_e32 v55, 16, v46
	s_waitcnt lgkmcnt(1)
	v_add_co_u32_e64 v58, s[4:5], v56, v19
	s_waitcnt lgkmcnt(0)
	v_addc_co_u32_e64 v57, s[4:5], v57, v3, s[4:5]
	v_cndmask_b32_e64 v56, 0, 1, s[6:7]
	v_cmp_gt_u32_e64 s[4:5], v55, v2
	v_lshlrev_b32_e32 v56, 5, v56
	v_cndmask_b32_e64 v7, v58, v7, s[4:5]
	v_add_lshl_u32 v56, v56, v18, 2
	v_cndmask_b32_e64 v3, v57, v3, s[4:5]
	ds_bpermute_b32 v7, v56, v7
	ds_bpermute_b32 v18, v56, v3
	v_add_u32_e32 v57, 32, v46
	v_cndmask_b32_e64 v19, v58, v19, s[4:5]
	v_cmp_le_u32_e64 s[4:5], v57, v2
	s_waitcnt lgkmcnt(1)
	v_cndmask_b32_e64 v7, 0, v7, s[4:5]
	s_waitcnt lgkmcnt(0)
	v_cndmask_b32_e64 v2, 0, v18, s[4:5]
	v_add_co_u32_e64 v7, s[4:5], v7, v19
	v_addc_co_u32_e64 v2, s[4:5], v2, v3, s[4:5]
	v_mov_b32_e32 v13, 0
	v_cndmask_b32_e32 v5, v5, v2, vcc
	v_cndmask_b32_e32 v4, v4, v7, vcc
	s_branch .LBB23_328
.LBB23_327:                             ;   in Loop: Header=BB23_328 Depth=1
	s_or_b64 exec, exec, s[4:5]
	v_cmp_eq_u16_sdwa s[4:5], v6, v45 src0_sel:BYTE_0 src1_sel:DWORD
	v_and_b32_e32 v7, s5, v15
	v_or_b32_e32 v7, 0x80000000, v7
	ds_bpermute_b32 v19, v47, v4
	v_and_b32_e32 v18, s4, v14
	v_ffbl_b32_e32 v7, v7
	v_add_u32_e32 v7, 32, v7
	v_ffbl_b32_e32 v18, v18
	v_min_u32_e32 v7, v18, v7
	ds_bpermute_b32 v18, v47, v5
	s_waitcnt lgkmcnt(1)
	v_add_co_u32_e32 v19, vcc, v4, v19
	v_addc_co_u32_e32 v58, vcc, 0, v5, vcc
	v_add_co_u32_e32 v59, vcc, 0, v19
	s_waitcnt lgkmcnt(0)
	v_addc_co_u32_e32 v18, vcc, v18, v58, vcc
	v_cmp_lt_u32_e32 vcc, v46, v7
	v_cndmask_b32_e32 v19, v4, v19, vcc
	ds_bpermute_b32 v58, v48, v19
	v_cndmask_b32_e32 v18, v5, v18, vcc
	ds_bpermute_b32 v60, v48, v18
	v_cndmask_b32_e32 v59, v4, v59, vcc
	v_subrev_u32_e32 v12, 64, v12
	s_waitcnt lgkmcnt(1)
	v_add_co_u32_e64 v58, s[4:5], v58, v59
	s_waitcnt lgkmcnt(0)
	v_addc_co_u32_e64 v60, s[4:5], v60, v18, s[4:5]
	v_cmp_gt_u32_e64 s[4:5], v49, v7
	v_cndmask_b32_e64 v19, v58, v19, s[4:5]
	ds_bpermute_b32 v61, v50, v19
	v_cndmask_b32_e64 v18, v60, v18, s[4:5]
	ds_bpermute_b32 v60, v50, v18
	v_cndmask_b32_e64 v58, v58, v59, s[4:5]
	s_waitcnt lgkmcnt(1)
	v_add_co_u32_e64 v59, s[4:5], v61, v58
	s_waitcnt lgkmcnt(0)
	v_addc_co_u32_e64 v60, s[4:5], v60, v18, s[4:5]
	v_cmp_gt_u32_e64 s[4:5], v51, v7
	v_cndmask_b32_e64 v19, v59, v19, s[4:5]
	ds_bpermute_b32 v61, v52, v19
	v_cndmask_b32_e64 v18, v60, v18, s[4:5]
	ds_bpermute_b32 v60, v52, v18
	v_cndmask_b32_e64 v58, v59, v58, s[4:5]
	;; [unrolled: 10-line block ×3, first 2 shown]
	s_waitcnt lgkmcnt(1)
	v_add_co_u32_e64 v59, s[4:5], v61, v58
	s_waitcnt lgkmcnt(0)
	v_addc_co_u32_e64 v60, s[4:5], v60, v18, s[4:5]
	v_cmp_gt_u32_e64 s[4:5], v55, v7
	v_cndmask_b32_e64 v19, v59, v19, s[4:5]
	v_cndmask_b32_e64 v18, v60, v18, s[4:5]
	ds_bpermute_b32 v19, v56, v19
	ds_bpermute_b32 v60, v56, v18
	v_cndmask_b32_e64 v58, v59, v58, s[4:5]
	v_cmp_le_u32_e64 s[4:5], v57, v7
	s_waitcnt lgkmcnt(1)
	v_cndmask_b32_e64 v19, 0, v19, s[4:5]
	s_waitcnt lgkmcnt(0)
	v_cndmask_b32_e64 v7, 0, v60, s[4:5]
	v_add_co_u32_e64 v19, s[4:5], v19, v58
	v_addc_co_u32_e64 v7, s[4:5], v7, v18, s[4:5]
	v_cndmask_b32_e32 v4, v4, v19, vcc
	v_cndmask_b32_e32 v5, v5, v7, vcc
	v_add_co_u32_e32 v4, vcc, v4, v2
	v_addc_co_u32_e32 v5, vcc, v5, v3, vcc
.LBB23_328:                             ; =>This Loop Header: Depth=1
                                        ;     Child Loop BB23_331 Depth 2
	v_cmp_ne_u16_sdwa s[4:5], v6, v45 src0_sel:BYTE_0 src1_sel:DWORD
	v_cndmask_b32_e64 v2, 0, 1, s[4:5]
	;;#ASMSTART
	;;#ASMEND
	v_cmp_ne_u32_e32 vcc, 0, v2
	s_cmp_lg_u64 vcc, exec
	v_pk_mov_b32 v[2:3], v[4:5], v[4:5] op_sel:[0,1]
	s_cbranch_scc1 .LBB23_333
; %bb.329:                              ;   in Loop: Header=BB23_328 Depth=1
	v_lshlrev_b64 v[4:5], 4, v[12:13]
	v_mov_b32_e32 v6, s13
	v_add_co_u32_e32 v18, vcc, s12, v4
	v_addc_co_u32_e32 v19, vcc, v6, v5, vcc
	;;#ASMSTART
	global_load_dwordx4 v[4:7], v[18:19] off glc	
s_waitcnt vmcnt(0)
	;;#ASMEND
	v_and_b32_e32 v7, 0xff, v5
	v_and_b32_e32 v58, 0xff00, v5
	;; [unrolled: 1-line block ×3, first 2 shown]
	v_or3_b32 v7, 0, v7, v58
	v_or3_b32 v4, v4, 0, 0
	v_and_b32_e32 v5, 0xff000000, v5
	v_or3_b32 v5, v7, v59, v5
	v_or3_b32 v4, v4, 0, 0
	v_cmp_eq_u16_sdwa s[6:7], v6, v13 src0_sel:BYTE_0 src1_sel:DWORD
	s_and_saveexec_b64 s[4:5], s[6:7]
	s_cbranch_execz .LBB23_327
; %bb.330:                              ;   in Loop: Header=BB23_328 Depth=1
	s_mov_b64 s[6:7], 0
.LBB23_331:                             ;   Parent Loop BB23_328 Depth=1
                                        ; =>  This Inner Loop Header: Depth=2
	;;#ASMSTART
	global_load_dwordx4 v[4:7], v[18:19] off glc	
s_waitcnt vmcnt(0)
	;;#ASMEND
	v_cmp_ne_u16_sdwa s[28:29], v6, v13 src0_sel:BYTE_0 src1_sel:DWORD
	s_or_b64 s[6:7], s[28:29], s[6:7]
	s_andn2_b64 exec, exec, s[6:7]
	s_cbranch_execnz .LBB23_331
; %bb.332:                              ;   in Loop: Header=BB23_328 Depth=1
	s_or_b64 exec, exec, s[6:7]
	s_branch .LBB23_327
.LBB23_333:                             ;   in Loop: Header=BB23_328 Depth=1
                                        ; implicit-def: $vgpr4_vgpr5
                                        ; implicit-def: $vgpr6
	s_cbranch_execz .LBB23_328
; %bb.334:
	s_and_saveexec_b64 s[4:5], s[2:3]
	s_cbranch_execz .LBB23_336
; %bb.335:
	s_add_i32 s6, s14, 64
	s_mov_b32 s7, 0
	s_lshl_b64 s[6:7], s[6:7], 4
	s_add_u32 s6, s12, s6
	v_add_co_u32_e32 v4, vcc, v2, v0
	s_addc_u32 s7, s13, s7
	v_addc_co_u32_e32 v5, vcc, v3, v1, vcc
	v_mov_b32_e32 v6, 2
	v_mov_b32_e32 v7, 0
	v_pk_mov_b32 v[12:13], s[6:7], s[6:7] op_sel:[0,1]
	;;#ASMSTART
	global_store_dwordx4 v[12:13], v[4:7] off	
s_waitcnt vmcnt(0)
	;;#ASMEND
	ds_write_b128 v7, v[0:3] offset:32
.LBB23_336:
	s_or_b64 exec, exec, s[4:5]
	s_and_b64 exec, exec, s[0:1]
	s_cbranch_execz .LBB23_338
; %bb.337:
	v_mov_b32_e32 v0, 0
	ds_write_b64 v0, v[2:3] offset:24
.LBB23_338:
	s_or_b64 exec, exec, s[26:27]
	v_mov_b32_e32 v0, 0
	s_waitcnt lgkmcnt(0)
	s_barrier
	ds_read_b64 v[4:5], v0 offset:24
	s_waitcnt lgkmcnt(0)
	s_barrier
	ds_read_b128 v[0:3], v0 offset:32
	v_cndmask_b32_e64 v6, v11, v10, s[2:3]
	s_waitcnt lgkmcnt(0)
	v_cndmask_b32_e64 v1, v6, 0, s[0:1]
	v_add_co_u32_e32 v4, vcc, v4, v1
	s_branch .LBB23_351
.LBB23_339:
                                        ; implicit-def: $vgpr2_vgpr3
                                        ; implicit-def: $vgpr4_vgpr5
	s_and_b64 vcc, exec, s[4:5]
	s_cbranch_vccz .LBB23_351
; %bb.340:
	v_mov_b32_dpp v2, v8 row_shr:1 row_mask:0xf bank_mask:0xf
	v_mov_b32_e32 v0, 0
	v_add_co_u32_e32 v2, vcc, v2, v8
	v_mbcnt_hi_u32_b32 v4, -1, v44
	v_mov_b32_dpp v0, v0 row_shr:1 row_mask:0xf bank_mask:0xf
	v_addc_co_u32_e64 v3, s[2:3], 0, 0, vcc
	v_add_co_u32_e32 v5, vcc, 0, v2
	v_and_b32_e32 v1, 15, v4
	v_addc_co_u32_e32 v0, vcc, v0, v3, vcc
	v_cmp_eq_u32_e32 vcc, 0, v1
	v_cndmask_b32_e32 v2, v2, v8, vcc
	v_cndmask_b32_e64 v0, v0, 0, vcc
	v_cndmask_b32_e32 v3, v5, v8, vcc
	v_mov_b32_dpp v5, v2 row_shr:2 row_mask:0xf bank_mask:0xf
	v_mov_b32_dpp v6, v0 row_shr:2 row_mask:0xf bank_mask:0xf
	v_add_co_u32_e32 v5, vcc, v5, v3
	v_addc_co_u32_e32 v6, vcc, v6, v0, vcc
	v_cmp_lt_u32_e32 vcc, 1, v1
	v_cndmask_b32_e32 v2, v2, v5, vcc
	v_cndmask_b32_e32 v0, v0, v6, vcc
	v_cndmask_b32_e32 v3, v3, v5, vcc
	v_mov_b32_dpp v5, v2 row_shr:4 row_mask:0xf bank_mask:0xf
	v_mov_b32_dpp v6, v0 row_shr:4 row_mask:0xf bank_mask:0xf
	v_add_co_u32_e32 v5, vcc, v5, v3
	v_addc_co_u32_e32 v6, vcc, v6, v0, vcc
	v_cmp_lt_u32_e32 vcc, 3, v1
	v_cndmask_b32_e32 v2, v2, v5, vcc
	v_cndmask_b32_e32 v0, v0, v6, vcc
	;; [unrolled: 8-line block ×3, first 2 shown]
	v_cndmask_b32_e32 v0, v3, v5, vcc
	v_mov_b32_dpp v3, v1 row_bcast:15 row_mask:0xf bank_mask:0xf
	v_mov_b32_dpp v2, v6 row_bcast:15 row_mask:0xf bank_mask:0xf
	v_and_b32_e32 v7, 16, v4
	v_add_co_u32_e32 v2, vcc, v2, v0
	v_addc_co_u32_e32 v5, vcc, v3, v1, vcc
	v_cmp_eq_u32_e64 s[2:3], 0, v7
	v_cndmask_b32_e64 v7, v5, v1, s[2:3]
	v_cndmask_b32_e64 v3, v2, v6, s[2:3]
	v_cmp_eq_u32_e32 vcc, 0, v4
	v_mov_b32_dpp v6, v7 row_bcast:31 row_mask:0xf bank_mask:0xf
	v_mov_b32_dpp v3, v3 row_bcast:31 row_mask:0xf bank_mask:0xf
	v_cmp_ne_u32_e64 s[4:5], 0, v4
	s_and_saveexec_b64 s[6:7], s[4:5]
; %bb.341:
	v_cndmask_b32_e64 v1, v5, v1, s[2:3]
	v_cndmask_b32_e64 v0, v2, v0, s[2:3]
	v_cmp_lt_u32_e64 s[2:3], 31, v4
	v_cndmask_b32_e64 v3, 0, v3, s[2:3]
	v_cndmask_b32_e64 v2, 0, v6, s[2:3]
	v_add_co_u32_e64 v8, s[2:3], v3, v0
	v_addc_co_u32_e64 v9, s[2:3], v2, v1, s[2:3]
; %bb.342:
	s_or_b64 exec, exec, s[6:7]
	v_and_b32_e32 v1, 0x3c0, v16
	v_min_u32_e32 v1, 0xc0, v1
	v_or_b32_e32 v1, 63, v1
	v_lshrrev_b32_e32 v0, 6, v16
	v_cmp_eq_u32_e64 s[2:3], v1, v16
	s_and_saveexec_b64 s[4:5], s[2:3]
	s_cbranch_execz .LBB23_344
; %bb.343:
	v_lshlrev_b32_e32 v1, 3, v0
	ds_write_b64 v1, v[8:9]
.LBB23_344:
	s_or_b64 exec, exec, s[4:5]
	v_cmp_gt_u32_e64 s[2:3], 4, v16
	s_waitcnt lgkmcnt(0)
	s_barrier
	s_and_saveexec_b64 s[6:7], s[2:3]
	s_cbranch_execz .LBB23_346
; %bb.345:
	v_lshl_add_u32 v1, v16, 2, v26
	ds_read_b64 v[2:3], v1
	v_and_b32_e32 v5, 3, v4
	v_cmp_ne_u32_e64 s[4:5], 1, v5
	s_waitcnt lgkmcnt(0)
	v_mov_b32_dpp v6, v2 row_shr:1 row_mask:0xf bank_mask:0xf
	v_add_co_u32_e64 v6, s[2:3], v2, v6
	v_addc_co_u32_e64 v9, s[2:3], 0, v3, s[2:3]
	v_mov_b32_dpp v7, v3 row_shr:1 row_mask:0xf bank_mask:0xf
	v_add_co_u32_e64 v10, s[2:3], 0, v6
	v_addc_co_u32_e64 v7, s[2:3], v7, v9, s[2:3]
	v_cmp_eq_u32_e64 s[2:3], 0, v5
	v_cndmask_b32_e64 v6, v6, v2, s[2:3]
	v_cndmask_b32_e64 v9, v7, v3, s[2:3]
	s_nop 0
	v_mov_b32_dpp v6, v6 row_shr:2 row_mask:0xf bank_mask:0xf
	v_mov_b32_dpp v9, v9 row_shr:2 row_mask:0xf bank_mask:0xf
	v_cndmask_b32_e64 v5, 0, v6, s[4:5]
	v_cndmask_b32_e64 v6, 0, v9, s[4:5]
	v_add_co_u32_e64 v5, s[4:5], v5, v10
	v_addc_co_u32_e64 v6, s[4:5], v6, v7, s[4:5]
	v_cndmask_b32_e64 v3, v6, v3, s[2:3]
	v_cndmask_b32_e64 v2, v5, v2, s[2:3]
	ds_write_b64 v1, v[2:3]
.LBB23_346:
	s_or_b64 exec, exec, s[6:7]
	v_cmp_lt_u32_e64 s[2:3], 63, v16
	v_pk_mov_b32 v[2:3], 0, 0
	s_waitcnt lgkmcnt(0)
	s_barrier
	s_and_saveexec_b64 s[4:5], s[2:3]
	s_cbranch_execz .LBB23_348
; %bb.347:
	v_lshl_add_u32 v0, v0, 3, -8
	ds_read_b64 v[2:3], v0
.LBB23_348:
	s_or_b64 exec, exec, s[4:5]
	v_add_u32_e32 v1, -1, v4
	s_waitcnt lgkmcnt(0)
	v_and_b32_e32 v3, 64, v4
	v_cmp_lt_i32_e64 s[2:3], v1, v3
	v_cndmask_b32_e64 v1, v1, v4, s[2:3]
	v_add_u32_e32 v0, v2, v8
	v_lshlrev_b32_e32 v1, 2, v1
	ds_bpermute_b32 v4, v1, v0
	v_mov_b32_e32 v3, 0
	ds_read_b64 v[0:1], v3 offset:24
	s_waitcnt lgkmcnt(1)
	v_cndmask_b32_e32 v4, v4, v2, vcc
	s_and_saveexec_b64 s[2:3], s[0:1]
	s_cbranch_execz .LBB23_350
; %bb.349:
	s_add_u32 s0, s12, 0x400
	s_addc_u32 s1, s13, 0
	v_mov_b32_e32 v2, 2
	v_pk_mov_b32 v[6:7], s[0:1], s[0:1] op_sel:[0,1]
	s_waitcnt lgkmcnt(0)
	;;#ASMSTART
	global_store_dwordx4 v[6:7], v[0:3] off	
s_waitcnt vmcnt(0)
	;;#ASMEND
.LBB23_350:
	s_or_b64 exec, exec, s[2:3]
	v_pk_mov_b32 v[2:3], 0, 0
.LBB23_351:
	s_xor_b64 s[0:1], s[10:11], -1
	s_xor_b64 s[2:3], s[16:17], -1
	;; [unrolled: 1-line block ×5, first 2 shown]
	s_waitcnt lgkmcnt(0)
	v_sub_u32_e32 v1, v4, v2
	s_barrier
	s_and_saveexec_b64 s[12:13], s[22:23]
	s_cbranch_execnz .LBB23_389
; %bb.352:
	s_or_b64 exec, exec, s[12:13]
	s_and_saveexec_b64 s[12:13], s[10:11]
	s_cbranch_execnz .LBB23_390
.LBB23_353:
	s_or_b64 exec, exec, s[12:13]
	s_and_saveexec_b64 s[10:11], s[6:7]
	s_cbranch_execnz .LBB23_391
.LBB23_354:
	s_or_b64 exec, exec, s[10:11]
	s_and_saveexec_b64 s[6:7], s[4:5]
	s_cbranch_execnz .LBB23_392
.LBB23_355:
	s_or_b64 exec, exec, s[6:7]
	s_and_saveexec_b64 s[4:5], s[2:3]
	s_cbranch_execnz .LBB23_393
.LBB23_356:
	s_or_b64 exec, exec, s[4:5]
	s_and_saveexec_b64 s[2:3], s[0:1]
	s_cbranch_execz .LBB23_358
.LBB23_357:
	v_lshlrev_b32_e32 v4, 2, v1
	v_add_u32_e32 v1, 1, v1
	ds_write_b32 v4, v28 offset:1024
.LBB23_358:
	s_or_b64 exec, exec, s[2:3]
	v_and_b32_e32 v4, 64, v43
	v_cmp_ne_u32_e32 vcc, 0, v4
	s_and_saveexec_b64 s[0:1], vcc
	s_cbranch_execz .LBB23_360
; %bb.359:
	v_lshlrev_b32_e32 v4, 2, v1
	v_add_u32_e32 v1, 1, v1
	ds_write_b32 v4, v29 offset:1024
.LBB23_360:
	s_or_b64 exec, exec, s[0:1]
	v_and_b32_e32 v4, 0x80, v42
	v_cmp_ne_u32_e32 vcc, 0, v4
	s_and_saveexec_b64 s[0:1], vcc
	s_cbranch_execz .LBB23_362
; %bb.361:
	v_lshlrev_b32_e32 v4, 2, v1
	v_add_u32_e32 v1, 1, v1
	ds_write_b32 v4, v30 offset:1024
.LBB23_362:
	;; [unrolled: 10-line block ×9, first 2 shown]
	s_or_b64 exec, exec, s[0:1]
	v_and_b32_e32 v4, 0x8000, v20
	v_cmp_ne_u32_e32 vcc, 0, v4
	s_and_saveexec_b64 s[0:1], vcc
	s_cbranch_execz .LBB23_378
; %bb.377:
	v_lshlrev_b32_e32 v1, 2, v1
	ds_write_b32 v1, v38 offset:1024
.LBB23_378:
	s_or_b64 exec, exec, s[0:1]
	v_cmp_lt_i32_e32 vcc, v16, v0
	s_waitcnt lgkmcnt(0)
	s_barrier
	s_and_saveexec_b64 s[0:1], vcc
	s_cbranch_execz .LBB23_388
; %bb.379:
	v_xad_u32 v1, v16, -1, v0
	s_movk_i32 s0, 0xff
	v_cmp_lt_u32_e32 vcc, s0, v1
	s_mov_b64 s[0:1], -1
	v_lshlrev_b64 v[2:3], 2, v[2:3]
	s_and_saveexec_b64 s[2:3], vcc
	s_cbranch_execz .LBB23_385
; %bb.380:
	v_lshrrev_b32_e32 v1, 8, v1
	v_add_u32_e32 v8, 1, v1
	v_mov_b32_e32 v1, s9
	v_add_co_u32_e32 v9, vcc, s8, v2
	v_addc_co_u32_e32 v10, vcc, v1, v3, vcc
	v_and_b32_e32 v1, 0x1fffffe, v8
	v_add_u32_e32 v17, 0x100, v16
	s_mov_b64 s[4:5], 0
	v_mov_b32_e32 v5, 0
	v_mov_b32_e32 v11, v1
	v_pk_mov_b32 v[6:7], v[16:17], v[16:17] op_sel:[0,1]
.LBB23_381:                             ; =>This Inner Loop Header: Depth=1
	ds_read2st64_b32 v[12:13], v22 offset1:4
	v_mov_b32_e32 v4, v6
	v_add_u32_e32 v11, -2, v11
	v_lshlrev_b64 v[14:15], 2, v[4:5]
	v_mov_b32_e32 v4, v7
	v_cmp_eq_u32_e32 vcc, 0, v11
	v_add_co_u32_e64 v14, s[0:1], v9, v14
	v_lshlrev_b64 v[18:19], 2, v[4:5]
	v_add_u32_e32 v6, 0x200, v6
	v_add_u32_e32 v22, 0x800, v22
	;; [unrolled: 1-line block ×3, first 2 shown]
	v_addc_co_u32_e64 v15, s[0:1], v10, v15, s[0:1]
	s_or_b64 s[4:5], vcc, s[4:5]
	v_add_co_u32_e32 v18, vcc, v9, v18
	v_addc_co_u32_e32 v19, vcc, v10, v19, vcc
	s_waitcnt lgkmcnt(0)
	global_store_dword v[14:15], v12, off
	global_store_dword v[18:19], v13, off
	s_andn2_b64 exec, exec, s[4:5]
	s_cbranch_execnz .LBB23_381
; %bb.382:
	s_or_b64 exec, exec, s[4:5]
	v_cmp_ne_u32_e32 vcc, v8, v1
	s_mov_b64 s[0:1], 0
	s_and_saveexec_b64 s[4:5], vcc
; %bb.383:
	s_mov_b64 s[0:1], exec
	v_lshl_add_u32 v16, v1, 8, v16
	v_mov_b32_e32 v17, 0
; %bb.384:
	s_or_b64 exec, exec, s[4:5]
	s_orn2_b64 s[0:1], s[0:1], exec
.LBB23_385:
	s_or_b64 exec, exec, s[2:3]
	s_and_b64 exec, exec, s[0:1]
	s_cbranch_execz .LBB23_388
; %bb.386:
	v_mov_b32_e32 v6, s9
	v_add_co_u32_e32 v2, vcc, s8, v2
	v_lshlrev_b64 v[4:5], 2, v[16:17]
	v_addc_co_u32_e32 v3, vcc, v6, v3, vcc
	v_mov_b32_e32 v1, 0x400
	v_add_co_u32_e32 v2, vcc, v2, v4
	v_lshl_add_u32 v1, v16, 2, v1
	v_addc_co_u32_e32 v3, vcc, v3, v5, vcc
	s_mov_b64 s[0:1], 0
.LBB23_387:                             ; =>This Inner Loop Header: Depth=1
	ds_read_b32 v4, v1
	v_add_u32_e32 v16, 0x100, v16
	v_cmp_ge_i32_e32 vcc, v16, v0
	s_or_b64 s[0:1], vcc, s[0:1]
	v_add_u32_e32 v1, 0x400, v1
	s_waitcnt lgkmcnt(0)
	global_store_dword v[2:3], v4, off
	v_add_co_u32_e32 v2, vcc, 0x400, v2
	v_addc_co_u32_e32 v3, vcc, 0, v3, vcc
	s_andn2_b64 exec, exec, s[0:1]
	s_cbranch_execnz .LBB23_387
.LBB23_388:
	s_endpgm
.LBB23_389:
	v_lshlrev_b32_e32 v4, 2, v1
	v_add_u32_e32 v1, 1, v1
	ds_write_b32 v4, v23 offset:1024
	s_or_b64 exec, exec, s[12:13]
	s_and_saveexec_b64 s[12:13], s[10:11]
	s_cbranch_execz .LBB23_353
.LBB23_390:
	v_lshlrev_b32_e32 v4, 2, v1
	v_add_u32_e32 v1, 1, v1
	ds_write_b32 v4, v21 offset:1024
	s_or_b64 exec, exec, s[12:13]
	s_and_saveexec_b64 s[10:11], s[6:7]
	s_cbranch_execz .LBB23_354
.LBB23_391:
	v_lshlrev_b32_e32 v4, 2, v1
	v_add_u32_e32 v1, 1, v1
	ds_write_b32 v4, v24 offset:1024
	s_or_b64 exec, exec, s[10:11]
	s_and_saveexec_b64 s[6:7], s[4:5]
	s_cbranch_execz .LBB23_355
.LBB23_392:
	v_lshlrev_b32_e32 v4, 2, v1
	v_add_u32_e32 v1, 1, v1
	ds_write_b32 v4, v25 offset:1024
	s_or_b64 exec, exec, s[6:7]
	s_and_saveexec_b64 s[4:5], s[2:3]
	s_cbranch_execz .LBB23_356
.LBB23_393:
	v_lshlrev_b32_e32 v4, 2, v1
	v_add_u32_e32 v1, 1, v1
	ds_write_b32 v4, v27 offset:1024
	s_or_b64 exec, exec, s[4:5]
	s_and_saveexec_b64 s[2:3], s[0:1]
	s_cbranch_execnz .LBB23_357
	s_branch .LBB23_358
	.section	.rodata,"a",@progbits
	.p2align	6, 0x0
	.amdhsa_kernel _ZN6thrust23THRUST_200600_302600_NS11hip_rocprim16__set_operations22lookback_set_op_kernelIN7rocprim17ROCPRIM_400000_NS13kernel_configILj256ELj16ELj4294967295EEELb0ENS0_6detail15normal_iteratorINS0_10device_ptrIKiEEEESD_PiSE_lNS9_INSA_IiEEEESE_NS0_4lessIiEENS2_23serial_set_intersectionENS5_6detail19lookback_scan_stateIlLb0ELb1EEEEEvT1_T2_T3_T4_T6_T7_T8_T9_PNS0_4pairIT5_SW_EEPSW_T10_NSK_16ordered_block_idIjEE
		.amdhsa_group_segment_fixed_size 36868
		.amdhsa_private_segment_fixed_size 0
		.amdhsa_kernarg_size 344
		.amdhsa_user_sgpr_count 6
		.amdhsa_user_sgpr_private_segment_buffer 1
		.amdhsa_user_sgpr_dispatch_ptr 0
		.amdhsa_user_sgpr_queue_ptr 0
		.amdhsa_user_sgpr_kernarg_segment_ptr 1
		.amdhsa_user_sgpr_dispatch_id 0
		.amdhsa_user_sgpr_flat_scratch_init 0
		.amdhsa_user_sgpr_kernarg_preload_length 0
		.amdhsa_user_sgpr_kernarg_preload_offset 0
		.amdhsa_user_sgpr_private_segment_size 0
		.amdhsa_uses_dynamic_stack 0
		.amdhsa_system_sgpr_private_segment_wavefront_offset 0
		.amdhsa_system_sgpr_workgroup_id_x 1
		.amdhsa_system_sgpr_workgroup_id_y 0
		.amdhsa_system_sgpr_workgroup_id_z 0
		.amdhsa_system_sgpr_workgroup_info 0
		.amdhsa_system_vgpr_workitem_id 2
		.amdhsa_next_free_vgpr 74
		.amdhsa_next_free_sgpr 32
		.amdhsa_accum_offset 76
		.amdhsa_reserve_vcc 1
		.amdhsa_reserve_flat_scratch 0
		.amdhsa_float_round_mode_32 0
		.amdhsa_float_round_mode_16_64 0
		.amdhsa_float_denorm_mode_32 3
		.amdhsa_float_denorm_mode_16_64 3
		.amdhsa_dx10_clamp 1
		.amdhsa_ieee_mode 1
		.amdhsa_fp16_overflow 0
		.amdhsa_tg_split 0
		.amdhsa_exception_fp_ieee_invalid_op 0
		.amdhsa_exception_fp_denorm_src 0
		.amdhsa_exception_fp_ieee_div_zero 0
		.amdhsa_exception_fp_ieee_overflow 0
		.amdhsa_exception_fp_ieee_underflow 0
		.amdhsa_exception_fp_ieee_inexact 0
		.amdhsa_exception_int_div_zero 0
	.end_amdhsa_kernel
	.section	.text._ZN6thrust23THRUST_200600_302600_NS11hip_rocprim16__set_operations22lookback_set_op_kernelIN7rocprim17ROCPRIM_400000_NS13kernel_configILj256ELj16ELj4294967295EEELb0ENS0_6detail15normal_iteratorINS0_10device_ptrIKiEEEESD_PiSE_lNS9_INSA_IiEEEESE_NS0_4lessIiEENS2_23serial_set_intersectionENS5_6detail19lookback_scan_stateIlLb0ELb1EEEEEvT1_T2_T3_T4_T6_T7_T8_T9_PNS0_4pairIT5_SW_EEPSW_T10_NSK_16ordered_block_idIjEE,"axG",@progbits,_ZN6thrust23THRUST_200600_302600_NS11hip_rocprim16__set_operations22lookback_set_op_kernelIN7rocprim17ROCPRIM_400000_NS13kernel_configILj256ELj16ELj4294967295EEELb0ENS0_6detail15normal_iteratorINS0_10device_ptrIKiEEEESD_PiSE_lNS9_INSA_IiEEEESE_NS0_4lessIiEENS2_23serial_set_intersectionENS5_6detail19lookback_scan_stateIlLb0ELb1EEEEEvT1_T2_T3_T4_T6_T7_T8_T9_PNS0_4pairIT5_SW_EEPSW_T10_NSK_16ordered_block_idIjEE,comdat
.Lfunc_end23:
	.size	_ZN6thrust23THRUST_200600_302600_NS11hip_rocprim16__set_operations22lookback_set_op_kernelIN7rocprim17ROCPRIM_400000_NS13kernel_configILj256ELj16ELj4294967295EEELb0ENS0_6detail15normal_iteratorINS0_10device_ptrIKiEEEESD_PiSE_lNS9_INSA_IiEEEESE_NS0_4lessIiEENS2_23serial_set_intersectionENS5_6detail19lookback_scan_stateIlLb0ELb1EEEEEvT1_T2_T3_T4_T6_T7_T8_T9_PNS0_4pairIT5_SW_EEPSW_T10_NSK_16ordered_block_idIjEE, .Lfunc_end23-_ZN6thrust23THRUST_200600_302600_NS11hip_rocprim16__set_operations22lookback_set_op_kernelIN7rocprim17ROCPRIM_400000_NS13kernel_configILj256ELj16ELj4294967295EEELb0ENS0_6detail15normal_iteratorINS0_10device_ptrIKiEEEESD_PiSE_lNS9_INSA_IiEEEESE_NS0_4lessIiEENS2_23serial_set_intersectionENS5_6detail19lookback_scan_stateIlLb0ELb1EEEEEvT1_T2_T3_T4_T6_T7_T8_T9_PNS0_4pairIT5_SW_EEPSW_T10_NSK_16ordered_block_idIjEE
                                        ; -- End function
	.section	.AMDGPU.csdata,"",@progbits
; Kernel info:
; codeLenInByte = 17960
; NumSgprs: 36
; NumVgprs: 74
; NumAgprs: 0
; TotalNumVgprs: 74
; ScratchSize: 0
; MemoryBound: 0
; FloatMode: 240
; IeeeMode: 1
; LDSByteSize: 36868 bytes/workgroup (compile time only)
; SGPRBlocks: 4
; VGPRBlocks: 9
; NumSGPRsForWavesPerEU: 36
; NumVGPRsForWavesPerEU: 74
; AccumOffset: 76
; Occupancy: 1
; WaveLimiterHint : 1
; COMPUTE_PGM_RSRC2:SCRATCH_EN: 0
; COMPUTE_PGM_RSRC2:USER_SGPR: 6
; COMPUTE_PGM_RSRC2:TRAP_HANDLER: 0
; COMPUTE_PGM_RSRC2:TGID_X_EN: 1
; COMPUTE_PGM_RSRC2:TGID_Y_EN: 0
; COMPUTE_PGM_RSRC2:TGID_Z_EN: 0
; COMPUTE_PGM_RSRC2:TIDIG_COMP_CNT: 2
; COMPUTE_PGM_RSRC3_GFX90A:ACCUM_OFFSET: 18
; COMPUTE_PGM_RSRC3_GFX90A:TG_SPLIT: 0
	.section	.text._ZN6thrust23THRUST_200600_302600_NS11hip_rocprim14__parallel_for6kernelILj256EZNS1_16__set_operations9doit_stepILb0ENS0_6detail15normal_iteratorINS0_10device_ptrIKiEEEESB_PiSC_lNS7_INS8_IiEEEESC_NS0_4lessIiEENS4_21serial_set_differenceEEE10hipError_tPvRmT0_T1_T2_T3_T4_SP_T5_T6_PSP_T7_T8_P12ihipStream_tbEUllE_jLj1EEEvSL_SM_SM_,"axG",@progbits,_ZN6thrust23THRUST_200600_302600_NS11hip_rocprim14__parallel_for6kernelILj256EZNS1_16__set_operations9doit_stepILb0ENS0_6detail15normal_iteratorINS0_10device_ptrIKiEEEESB_PiSC_lNS7_INS8_IiEEEESC_NS0_4lessIiEENS4_21serial_set_differenceEEE10hipError_tPvRmT0_T1_T2_T3_T4_SP_T5_T6_PSP_T7_T8_P12ihipStream_tbEUllE_jLj1EEEvSL_SM_SM_,comdat
	.protected	_ZN6thrust23THRUST_200600_302600_NS11hip_rocprim14__parallel_for6kernelILj256EZNS1_16__set_operations9doit_stepILb0ENS0_6detail15normal_iteratorINS0_10device_ptrIKiEEEESB_PiSC_lNS7_INS8_IiEEEESC_NS0_4lessIiEENS4_21serial_set_differenceEEE10hipError_tPvRmT0_T1_T2_T3_T4_SP_T5_T6_PSP_T7_T8_P12ihipStream_tbEUllE_jLj1EEEvSL_SM_SM_ ; -- Begin function _ZN6thrust23THRUST_200600_302600_NS11hip_rocprim14__parallel_for6kernelILj256EZNS1_16__set_operations9doit_stepILb0ENS0_6detail15normal_iteratorINS0_10device_ptrIKiEEEESB_PiSC_lNS7_INS8_IiEEEESC_NS0_4lessIiEENS4_21serial_set_differenceEEE10hipError_tPvRmT0_T1_T2_T3_T4_SP_T5_T6_PSP_T7_T8_P12ihipStream_tbEUllE_jLj1EEEvSL_SM_SM_
	.globl	_ZN6thrust23THRUST_200600_302600_NS11hip_rocprim14__parallel_for6kernelILj256EZNS1_16__set_operations9doit_stepILb0ENS0_6detail15normal_iteratorINS0_10device_ptrIKiEEEESB_PiSC_lNS7_INS8_IiEEEESC_NS0_4lessIiEENS4_21serial_set_differenceEEE10hipError_tPvRmT0_T1_T2_T3_T4_SP_T5_T6_PSP_T7_T8_P12ihipStream_tbEUllE_jLj1EEEvSL_SM_SM_
	.p2align	8
	.type	_ZN6thrust23THRUST_200600_302600_NS11hip_rocprim14__parallel_for6kernelILj256EZNS1_16__set_operations9doit_stepILb0ENS0_6detail15normal_iteratorINS0_10device_ptrIKiEEEESB_PiSC_lNS7_INS8_IiEEEESC_NS0_4lessIiEENS4_21serial_set_differenceEEE10hipError_tPvRmT0_T1_T2_T3_T4_SP_T5_T6_PSP_T7_T8_P12ihipStream_tbEUllE_jLj1EEEvSL_SM_SM_,@function
_ZN6thrust23THRUST_200600_302600_NS11hip_rocprim14__parallel_for6kernelILj256EZNS1_16__set_operations9doit_stepILb0ENS0_6detail15normal_iteratorINS0_10device_ptrIKiEEEESB_PiSC_lNS7_INS8_IiEEEESC_NS0_4lessIiEENS4_21serial_set_differenceEEE10hipError_tPvRmT0_T1_T2_T3_T4_SP_T5_T6_PSP_T7_T8_P12ihipStream_tbEUllE_jLj1EEEvSL_SM_SM_: ; @_ZN6thrust23THRUST_200600_302600_NS11hip_rocprim14__parallel_for6kernelILj256EZNS1_16__set_operations9doit_stepILb0ENS0_6detail15normal_iteratorINS0_10device_ptrIKiEEEESB_PiSC_lNS7_INS8_IiEEEESC_NS0_4lessIiEENS4_21serial_set_differenceEEE10hipError_tPvRmT0_T1_T2_T3_T4_SP_T5_T6_PSP_T7_T8_P12ihipStream_tbEUllE_jLj1EEEvSL_SM_SM_
; %bb.0:
	s_load_dwordx2 s[0:1], s[4:5], 0x30
	s_load_dwordx2 s[2:3], s[4:5], 0x20
	s_load_dwordx8 s[8:15], s[4:5], 0x0
	s_lshl_b32 s20, s6, 8
	s_waitcnt lgkmcnt(0)
	s_add_i32 s20, s20, s1
	s_sub_i32 s0, s0, s20
	s_cmpk_lt_u32 s0, 0x100
	s_cbranch_scc0 .LBB24_12
; %bb.1:
	v_cmp_gt_u32_e32 vcc, s0, v0
	s_mov_b64 s[4:5], 0
	s_mov_b64 s[0:1], 0
                                        ; implicit-def: $vgpr4_vgpr5
                                        ; implicit-def: $vgpr6_vgpr7
	s_and_saveexec_b64 s[6:7], vcc
	s_cbranch_execz .LBB24_13
; %bb.2:
	v_add_u32_e32 v6, s20, v0
	s_movk_i32 s0, 0xfff
	v_mad_u64_u32 v[2:3], s[0:1], v6, s0, 0
	s_add_u32 s0, s10, s8
	s_addc_u32 s1, s11, s9
	v_mov_b32_e32 v1, s1
	v_cmp_lt_i64_e32 vcc, s[0:1], v[2:3]
	v_cndmask_b32_e32 v5, v3, v1, vcc
	v_mov_b32_e32 v1, s0
	v_cndmask_b32_e32 v4, v2, v1, vcc
	v_mov_b32_e32 v1, s11
	v_subrev_co_u32_e32 v2, vcc, s10, v4
	v_subb_co_u32_e32 v3, vcc, v5, v1, vcc
	v_cmp_lt_i64_e32 vcc, 0, v[2:3]
	v_cndmask_b32_e32 v3, 0, v3, vcc
	v_cndmask_b32_e32 v2, 0, v2, vcc
	v_mov_b32_e32 v1, s9
	v_cmp_lt_i64_e32 vcc, s[8:9], v[4:5]
	v_cndmask_b32_e32 v9, v5, v1, vcc
	v_mov_b32_e32 v1, s8
	v_cndmask_b32_e32 v8, v4, v1, vcc
	v_mov_b32_e32 v7, 0
	s_mov_b64 s[0:1], 0
	v_cmp_lt_i64_e32 vcc, v[2:3], v[8:9]
	s_and_saveexec_b64 s[16:17], vcc
	s_cbranch_execz .LBB24_6
; %bb.3:
	v_lshlrev_b64 v[10:11], 2, v[4:5]
	v_mov_b32_e32 v12, s3
	v_add_co_u32_e32 v1, vcc, s2, v10
	v_addc_co_u32_e32 v10, vcc, v12, v11, vcc
	v_mov_b32_e32 v11, s15
.LBB24_4:                               ; =>This Inner Loop Header: Depth=1
	v_add_co_u32_e32 v12, vcc, v8, v2
	v_addc_co_u32_e32 v13, vcc, v9, v3, vcc
	v_ashrrev_i64 v[12:13], 1, v[12:13]
	v_lshlrev_b64 v[14:15], 2, v[12:13]
	v_not_b32_e32 v17, v13
	v_not_b32_e32 v16, v12
	v_add_co_u32_e32 v14, vcc, s14, v14
	v_addc_co_u32_e32 v15, vcc, v11, v15, vcc
	v_lshlrev_b64 v[16:17], 2, v[16:17]
	global_load_dword v18, v[14:15], off
	v_add_co_u32_e32 v14, vcc, v1, v16
	v_addc_co_u32_e32 v15, vcc, v10, v17, vcc
	global_load_dword v14, v[14:15], off
	v_add_co_u32_e32 v15, vcc, 1, v12
	v_addc_co_u32_e32 v16, vcc, 0, v13, vcc
	s_waitcnt vmcnt(0)
	v_cmp_lt_i32_e32 vcc, v14, v18
	v_cndmask_b32_e32 v9, v9, v13, vcc
	v_cndmask_b32_e32 v8, v8, v12, vcc
	;; [unrolled: 1-line block ×4, first 2 shown]
	v_cmp_ge_i64_e32 vcc, v[2:3], v[8:9]
	s_or_b64 s[0:1], vcc, s[0:1]
	s_andn2_b64 exec, exec, s[0:1]
	s_cbranch_execnz .LBB24_4
; %bb.5:
	s_or_b64 exec, exec, s[0:1]
.LBB24_6:
	s_or_b64 exec, exec, s[16:17]
	v_sub_co_u32_e32 v12, vcc, v4, v2
	v_subb_co_u32_e32 v13, vcc, v5, v3, vcc
	v_cmp_gt_i64_e32 vcc, s[10:11], v[12:13]
	v_pk_mov_b32 v[10:11], 0, 0
	s_and_saveexec_b64 s[16:17], vcc
	s_cbranch_execz .LBB24_38
; %bb.7:
	v_lshlrev_b64 v[8:9], 2, v[12:13]
	v_mov_b32_e32 v1, s3
	v_add_co_u32_e32 v10, vcc, s2, v8
	v_addc_co_u32_e32 v11, vcc, v1, v9, vcc
	global_load_dword v1, v[10:11], off
	v_cmp_lt_i64_e32 vcc, 0, v[2:3]
	v_pk_mov_b32 v[8:9], 0, 0
	v_pk_mov_b32 v[14:15], v[2:3], v[2:3] op_sel:[0,1]
	s_and_saveexec_b64 s[0:1], vcc
	s_cbranch_execnz .LBB24_14
; %bb.8:
	s_or_b64 exec, exec, s[0:1]
	v_cmp_lt_i64_e32 vcc, v[8:9], v[14:15]
	s_and_saveexec_b64 s[0:1], vcc
	s_cbranch_execnz .LBB24_15
.LBB24_9:
	s_or_b64 exec, exec, s[0:1]
	v_cmp_lt_i64_e32 vcc, v[8:9], v[14:15]
	s_and_saveexec_b64 s[0:1], vcc
	s_cbranch_execnz .LBB24_16
.LBB24_10:
	s_or_b64 exec, exec, s[0:1]
	v_cmp_lt_i64_e32 vcc, v[8:9], v[14:15]
	s_and_saveexec_b64 s[0:1], vcc
	s_cbranch_execnz .LBB24_17
.LBB24_11:
	s_or_b64 exec, exec, s[0:1]
	v_cmp_lt_i64_e32 vcc, v[8:9], v[14:15]
	s_and_saveexec_b64 s[0:1], vcc
	s_cbranch_execnz .LBB24_18
	s_branch .LBB24_21
.LBB24_12:
	s_mov_b64 s[0:1], 0
                                        ; implicit-def: $vgpr4_vgpr5
                                        ; implicit-def: $vgpr6_vgpr7
	s_cbranch_execnz .LBB24_39
	s_branch .LBB24_74
.LBB24_13:
	s_or_b64 exec, exec, s[6:7]
	s_and_b64 vcc, exec, s[4:5]
	s_cbranch_vccnz .LBB24_39
	s_branch .LBB24_74
.LBB24_14:
	s_movk_i32 s21, 0x1ff
	v_mad_u64_u32 v[8:9], s[18:19], v2, s21, 0
	v_mov_b32_e32 v14, v9
	v_mad_u64_u32 v[14:15], s[18:19], v3, s21, v[14:15]
	v_mov_b32_e32 v9, v14
	v_lshrrev_b64 v[14:15], 9, v[8:9]
	v_lshlrev_b64 v[8:9], 2, v[14:15]
	v_mov_b32_e32 v16, s15
	v_add_co_u32_e32 v8, vcc, s14, v8
	v_addc_co_u32_e32 v9, vcc, v16, v9, vcc
	global_load_dword v8, v[8:9], off
	v_add_co_u32_e32 v16, vcc, 1, v14
	v_addc_co_u32_e32 v9, vcc, 0, v15, vcc
	s_waitcnt vmcnt(0)
	v_cmp_lt_i32_e32 vcc, v8, v1
	v_cndmask_b32_e32 v9, 0, v9, vcc
	v_cndmask_b32_e32 v8, 0, v16, vcc
	;; [unrolled: 1-line block ×4, first 2 shown]
	s_or_b64 exec, exec, s[0:1]
	v_cmp_lt_i64_e32 vcc, v[8:9], v[14:15]
	s_and_saveexec_b64 s[0:1], vcc
	s_cbranch_execz .LBB24_9
.LBB24_15:
	s_movk_i32 s21, 0x7f
	v_mad_u64_u32 v[16:17], s[18:19], v14, s21, v[8:9]
	v_mov_b32_e32 v18, v17
	v_mad_u64_u32 v[18:19], s[18:19], v15, s21, v[18:19]
	v_mov_b32_e32 v17, v18
	v_lshrrev_b64 v[16:17], 7, v[16:17]
	v_lshlrev_b64 v[18:19], 2, v[16:17]
	v_mov_b32_e32 v20, s15
	v_add_co_u32_e32 v18, vcc, s14, v18
	v_addc_co_u32_e32 v19, vcc, v20, v19, vcc
	global_load_dword v18, v[18:19], off
	v_add_co_u32_e32 v19, vcc, 1, v16
	v_addc_co_u32_e32 v20, vcc, 0, v17, vcc
	s_waitcnt vmcnt(0)
	v_cmp_lt_i32_e32 vcc, v18, v1
	v_cndmask_b32_e32 v9, v9, v20, vcc
	v_cndmask_b32_e32 v8, v8, v19, vcc
	v_cndmask_b32_e32 v15, v17, v15, vcc
	v_cndmask_b32_e32 v14, v16, v14, vcc
	s_or_b64 exec, exec, s[0:1]
	v_cmp_lt_i64_e32 vcc, v[8:9], v[14:15]
	s_and_saveexec_b64 s[0:1], vcc
	s_cbranch_execz .LBB24_10
.LBB24_16:
	v_mad_u64_u32 v[16:17], s[18:19], v14, 31, v[8:9]
	v_mov_b32_e32 v18, v17
	v_mad_u64_u32 v[18:19], s[18:19], v15, 31, v[18:19]
	v_mov_b32_e32 v17, v18
	v_lshrrev_b64 v[16:17], 5, v[16:17]
	v_lshlrev_b64 v[18:19], 2, v[16:17]
	v_mov_b32_e32 v20, s15
	v_add_co_u32_e32 v18, vcc, s14, v18
	v_addc_co_u32_e32 v19, vcc, v20, v19, vcc
	global_load_dword v18, v[18:19], off
	v_add_co_u32_e32 v19, vcc, 1, v16
	v_addc_co_u32_e32 v20, vcc, 0, v17, vcc
	s_waitcnt vmcnt(0)
	v_cmp_lt_i32_e32 vcc, v18, v1
	v_cndmask_b32_e32 v9, v9, v20, vcc
	v_cndmask_b32_e32 v8, v8, v19, vcc
	;; [unrolled: 1-line block ×4, first 2 shown]
	s_or_b64 exec, exec, s[0:1]
	v_cmp_lt_i64_e32 vcc, v[8:9], v[14:15]
	s_and_saveexec_b64 s[0:1], vcc
	s_cbranch_execz .LBB24_11
.LBB24_17:
	v_mad_u64_u32 v[16:17], s[18:19], v14, 15, v[8:9]
	v_mov_b32_e32 v18, v17
	v_mad_u64_u32 v[18:19], s[18:19], v15, 15, v[18:19]
	v_mov_b32_e32 v17, v18
	v_lshrrev_b64 v[16:17], 4, v[16:17]
	v_lshlrev_b64 v[18:19], 2, v[16:17]
	v_mov_b32_e32 v20, s15
	v_add_co_u32_e32 v18, vcc, s14, v18
	v_addc_co_u32_e32 v19, vcc, v20, v19, vcc
	global_load_dword v18, v[18:19], off
	v_add_co_u32_e32 v19, vcc, 1, v16
	v_addc_co_u32_e32 v20, vcc, 0, v17, vcc
	s_waitcnt vmcnt(0)
	v_cmp_lt_i32_e32 vcc, v18, v1
	v_cndmask_b32_e32 v9, v9, v20, vcc
	v_cndmask_b32_e32 v8, v8, v19, vcc
	;; [unrolled: 1-line block ×4, first 2 shown]
	s_or_b64 exec, exec, s[0:1]
	v_cmp_lt_i64_e32 vcc, v[8:9], v[14:15]
	s_and_saveexec_b64 s[0:1], vcc
	s_cbranch_execz .LBB24_21
.LBB24_18:
	s_mov_b64 s[18:19], 0
	v_mov_b32_e32 v16, s15
.LBB24_19:                              ; =>This Inner Loop Header: Depth=1
	v_add_co_u32_e32 v18, vcc, v8, v14
	v_addc_co_u32_e32 v19, vcc, v9, v15, vcc
	v_ashrrev_i64 v[18:19], 1, v[18:19]
	v_lshlrev_b64 v[20:21], 2, v[18:19]
	v_add_co_u32_e32 v20, vcc, s14, v20
	v_addc_co_u32_e32 v21, vcc, v16, v21, vcc
	global_load_dword v17, v[20:21], off
	v_add_co_u32_e32 v20, vcc, 1, v18
	v_addc_co_u32_e32 v21, vcc, 0, v19, vcc
	s_waitcnt vmcnt(0)
	v_cmp_lt_i32_e32 vcc, v17, v1
	v_cndmask_b32_e32 v9, v9, v21, vcc
	v_cndmask_b32_e32 v8, v8, v20, vcc
	;; [unrolled: 1-line block ×4, first 2 shown]
	v_cmp_ge_i64_e32 vcc, v[8:9], v[14:15]
	s_or_b64 s[18:19], vcc, s[18:19]
	s_andn2_b64 exec, exec, s[18:19]
	s_cbranch_execnz .LBB24_19
; %bb.20:
	s_or_b64 exec, exec, s[18:19]
.LBB24_21:
	s_or_b64 exec, exec, s[0:1]
	v_cmp_lt_i64_e32 vcc, 0, v[12:13]
	v_pk_mov_b32 v[14:15], 0, 0
	v_pk_mov_b32 v[16:17], v[12:13], v[12:13] op_sel:[0,1]
	s_and_saveexec_b64 s[0:1], vcc
	s_cbranch_execnz .LBB24_26
; %bb.22:
	s_or_b64 exec, exec, s[0:1]
	v_cmp_lt_i64_e32 vcc, v[14:15], v[16:17]
	s_and_saveexec_b64 s[0:1], vcc
	s_cbranch_execnz .LBB24_27
.LBB24_23:
	s_or_b64 exec, exec, s[0:1]
	v_cmp_lt_i64_e32 vcc, v[14:15], v[16:17]
	s_and_saveexec_b64 s[0:1], vcc
	s_cbranch_execnz .LBB24_28
.LBB24_24:
	s_or_b64 exec, exec, s[0:1]
	v_cmp_lt_i64_e32 vcc, v[14:15], v[16:17]
	s_and_saveexec_b64 s[0:1], vcc
	s_cbranch_execnz .LBB24_29
.LBB24_25:
	s_or_b64 exec, exec, s[0:1]
	v_cmp_lt_i64_e32 vcc, v[14:15], v[16:17]
	s_and_saveexec_b64 s[0:1], vcc
	s_cbranch_execnz .LBB24_30
	s_branch .LBB24_33
.LBB24_26:
	s_movk_i32 s21, 0x1ff
	v_mad_u64_u32 v[14:15], s[18:19], v12, s21, 0
	v_mov_b32_e32 v16, v15
	v_mad_u64_u32 v[16:17], s[18:19], v13, s21, v[16:17]
	v_mov_b32_e32 v15, v16
	v_lshrrev_b64 v[16:17], 9, v[14:15]
	v_lshlrev_b64 v[14:15], 2, v[16:17]
	v_mov_b32_e32 v18, s3
	v_add_co_u32_e32 v14, vcc, s2, v14
	v_addc_co_u32_e32 v15, vcc, v18, v15, vcc
	global_load_dword v14, v[14:15], off
	v_add_co_u32_e32 v18, vcc, 1, v16
	v_addc_co_u32_e32 v15, vcc, 0, v17, vcc
	s_waitcnt vmcnt(0)
	v_cmp_lt_i32_e32 vcc, v14, v1
	v_cndmask_b32_e32 v15, 0, v15, vcc
	v_cndmask_b32_e32 v14, 0, v18, vcc
	;; [unrolled: 1-line block ×4, first 2 shown]
	s_or_b64 exec, exec, s[0:1]
	v_cmp_lt_i64_e32 vcc, v[14:15], v[16:17]
	s_and_saveexec_b64 s[0:1], vcc
	s_cbranch_execz .LBB24_23
.LBB24_27:
	s_movk_i32 s21, 0x7f
	v_mad_u64_u32 v[18:19], s[18:19], v16, s21, v[14:15]
	v_mov_b32_e32 v20, v19
	v_mad_u64_u32 v[20:21], s[18:19], v17, s21, v[20:21]
	v_mov_b32_e32 v19, v20
	v_lshrrev_b64 v[18:19], 7, v[18:19]
	v_lshlrev_b64 v[20:21], 2, v[18:19]
	v_mov_b32_e32 v22, s3
	v_add_co_u32_e32 v20, vcc, s2, v20
	v_addc_co_u32_e32 v21, vcc, v22, v21, vcc
	global_load_dword v20, v[20:21], off
	v_add_co_u32_e32 v21, vcc, 1, v18
	v_addc_co_u32_e32 v22, vcc, 0, v19, vcc
	s_waitcnt vmcnt(0)
	v_cmp_lt_i32_e32 vcc, v20, v1
	v_cndmask_b32_e32 v15, v15, v22, vcc
	v_cndmask_b32_e32 v14, v14, v21, vcc
	;; [unrolled: 1-line block ×4, first 2 shown]
	s_or_b64 exec, exec, s[0:1]
	v_cmp_lt_i64_e32 vcc, v[14:15], v[16:17]
	s_and_saveexec_b64 s[0:1], vcc
	s_cbranch_execz .LBB24_24
.LBB24_28:
	v_mad_u64_u32 v[18:19], s[18:19], v16, 31, v[14:15]
	v_mov_b32_e32 v20, v19
	v_mad_u64_u32 v[20:21], s[18:19], v17, 31, v[20:21]
	v_mov_b32_e32 v19, v20
	v_lshrrev_b64 v[18:19], 5, v[18:19]
	v_lshlrev_b64 v[20:21], 2, v[18:19]
	v_mov_b32_e32 v22, s3
	v_add_co_u32_e32 v20, vcc, s2, v20
	v_addc_co_u32_e32 v21, vcc, v22, v21, vcc
	global_load_dword v20, v[20:21], off
	v_add_co_u32_e32 v21, vcc, 1, v18
	v_addc_co_u32_e32 v22, vcc, 0, v19, vcc
	s_waitcnt vmcnt(0)
	v_cmp_lt_i32_e32 vcc, v20, v1
	v_cndmask_b32_e32 v15, v15, v22, vcc
	v_cndmask_b32_e32 v14, v14, v21, vcc
	;; [unrolled: 1-line block ×4, first 2 shown]
	s_or_b64 exec, exec, s[0:1]
	v_cmp_lt_i64_e32 vcc, v[14:15], v[16:17]
	s_and_saveexec_b64 s[0:1], vcc
	s_cbranch_execz .LBB24_25
.LBB24_29:
	v_mad_u64_u32 v[18:19], s[18:19], v16, 15, v[14:15]
	v_mov_b32_e32 v20, v19
	v_mad_u64_u32 v[20:21], s[18:19], v17, 15, v[20:21]
	v_mov_b32_e32 v19, v20
	v_lshrrev_b64 v[18:19], 4, v[18:19]
	v_lshlrev_b64 v[20:21], 2, v[18:19]
	v_mov_b32_e32 v22, s3
	v_add_co_u32_e32 v20, vcc, s2, v20
	v_addc_co_u32_e32 v21, vcc, v22, v21, vcc
	global_load_dword v20, v[20:21], off
	v_add_co_u32_e32 v21, vcc, 1, v18
	v_addc_co_u32_e32 v22, vcc, 0, v19, vcc
	s_waitcnt vmcnt(0)
	v_cmp_lt_i32_e32 vcc, v20, v1
	v_cndmask_b32_e32 v15, v15, v22, vcc
	v_cndmask_b32_e32 v14, v14, v21, vcc
	;; [unrolled: 1-line block ×4, first 2 shown]
	s_or_b64 exec, exec, s[0:1]
	v_cmp_lt_i64_e32 vcc, v[14:15], v[16:17]
	s_and_saveexec_b64 s[0:1], vcc
	s_cbranch_execz .LBB24_33
.LBB24_30:
	s_mov_b64 s[18:19], 0
	v_mov_b32_e32 v18, s3
.LBB24_31:                              ; =>This Inner Loop Header: Depth=1
	v_add_co_u32_e32 v20, vcc, v14, v16
	v_addc_co_u32_e32 v21, vcc, v15, v17, vcc
	v_ashrrev_i64 v[20:21], 1, v[20:21]
	v_lshlrev_b64 v[22:23], 2, v[20:21]
	v_add_co_u32_e32 v22, vcc, s2, v22
	v_addc_co_u32_e32 v23, vcc, v18, v23, vcc
	global_load_dword v19, v[22:23], off
	v_add_co_u32_e32 v22, vcc, 1, v20
	v_addc_co_u32_e32 v23, vcc, 0, v21, vcc
	s_waitcnt vmcnt(0)
	v_cmp_lt_i32_e32 vcc, v19, v1
	v_cndmask_b32_e32 v15, v15, v23, vcc
	v_cndmask_b32_e32 v14, v14, v22, vcc
	;; [unrolled: 1-line block ×4, first 2 shown]
	v_cmp_ge_i64_e32 vcc, v[14:15], v[16:17]
	s_or_b64 s[18:19], vcc, s[18:19]
	s_andn2_b64 exec, exec, s[18:19]
	s_cbranch_execnz .LBB24_31
; %bb.32:
	s_or_b64 exec, exec, s[18:19]
.LBB24_33:
	s_or_b64 exec, exec, s[0:1]
	v_sub_co_u32_e32 v2, vcc, v2, v8
	v_subb_co_u32_e32 v3, vcc, v3, v9, vcc
	v_sub_co_u32_e32 v18, vcc, v12, v14
	v_subb_co_u32_e32 v19, vcc, v13, v15, vcc
	v_add_co_u32_e32 v16, vcc, v18, v2
	v_addc_co_u32_e32 v17, vcc, v19, v3, vcc
	v_ashrrev_i64 v[2:3], 1, v[16:17]
	v_cmp_gt_i64_e32 vcc, v[2:3], v[18:19]
	v_cndmask_b32_e32 v2, v18, v2, vcc
	v_cndmask_b32_e32 v3, v19, v3, vcc
	v_add_co_u32_e32 v14, vcc, v14, v2
	v_addc_co_u32_e32 v15, vcc, v15, v3, vcc
	v_add_co_u32_e32 v14, vcc, 1, v14
	v_addc_co_u32_e32 v15, vcc, 0, v15, vcc
	v_mov_b32_e32 v20, s11
	v_cmp_gt_i64_e32 vcc, s[10:11], v[14:15]
	v_cndmask_b32_e32 v15, v20, v15, vcc
	v_mov_b32_e32 v20, s10
	v_cndmask_b32_e32 v14, v20, v14, vcc
	v_sub_co_u32_e32 v14, vcc, v14, v12
	v_subb_co_u32_e32 v15, vcc, v15, v13, vcc
	s_mov_b64 s[18:19], 0
	v_cmp_lt_i64_e32 vcc, 0, v[14:15]
	v_pk_mov_b32 v[12:13], 0, 0
	s_and_saveexec_b64 s[0:1], vcc
	s_cbranch_execz .LBB24_37
; %bb.34:
	v_pk_mov_b32 v[12:13], 0, 0
.LBB24_35:                              ; =>This Inner Loop Header: Depth=1
	v_add_co_u32_e32 v20, vcc, v12, v14
	v_addc_co_u32_e32 v21, vcc, v13, v15, vcc
	v_ashrrev_i64 v[20:21], 1, v[20:21]
	v_lshlrev_b64 v[22:23], 2, v[20:21]
	v_add_co_u32_e32 v22, vcc, v10, v22
	v_addc_co_u32_e32 v23, vcc, v11, v23, vcc
	global_load_dword v22, v[22:23], off
	v_add_co_u32_e32 v23, vcc, 1, v20
	v_addc_co_u32_e32 v24, vcc, 0, v21, vcc
	s_waitcnt vmcnt(0)
	v_cmp_gt_i32_e32 vcc, v22, v1
	v_cndmask_b32_e32 v13, v24, v13, vcc
	v_cndmask_b32_e32 v12, v23, v12, vcc
	;; [unrolled: 1-line block ×4, first 2 shown]
	v_cmp_ge_i64_e32 vcc, v[12:13], v[14:15]
	s_or_b64 s[18:19], vcc, s[18:19]
	s_andn2_b64 exec, exec, s[18:19]
	s_cbranch_execnz .LBB24_35
; %bb.36:
	s_or_b64 exec, exec, s[18:19]
	v_ashrrev_i32_e32 v13, 31, v12
.LBB24_37:
	s_or_b64 exec, exec, s[0:1]
	v_add_co_u32_e32 v10, vcc, v12, v18
	v_addc_co_u32_e32 v11, vcc, v13, v19, vcc
	v_cmp_lt_i64_e32 vcc, v[10:11], v[2:3]
	v_cndmask_b32_e32 v14, v2, v10, vcc
	s_waitcnt vmcnt(0)
	v_cndmask_b32_e32 v1, v3, v11, vcc
	v_sub_co_u32_e32 v12, vcc, v16, v14
	v_subb_co_u32_e32 v13, vcc, v17, v1, vcc
	v_add_co_u32_e32 v14, vcc, 1, v14
	v_addc_co_u32_e32 v15, vcc, 0, v1, vcc
	v_cmp_eq_u64_e32 vcc, v[12:13], v[14:15]
	v_cmp_lt_i64_e64 s[0:1], v[2:3], v[10:11]
	s_and_b64 s[0:1], vcc, s[0:1]
	v_cndmask_b32_e64 v10, 0, 1, s[0:1]
	s_mov_b32 s0, 0
	v_add_co_u32_e32 v2, vcc, v12, v8
	v_mov_b32_e32 v11, s0
	v_addc_co_u32_e32 v3, vcc, v13, v9, vcc
.LBB24_38:
	s_or_b64 exec, exec, s[16:17]
	v_add_co_u32_e32 v1, vcc, v10, v4
	v_addc_co_u32_e32 v5, vcc, v11, v5, vcc
	v_sub_co_u32_e32 v4, vcc, v1, v2
	s_mov_b64 s[0:1], exec
	v_subb_co_u32_e32 v5, vcc, v5, v3, vcc
	s_or_b64 exec, exec, s[6:7]
	s_and_b64 vcc, exec, s[4:5]
	s_cbranch_vccz .LBB24_74
.LBB24_39:
	v_add_u32_e32 v6, s20, v0
	s_movk_i32 s0, 0xfff
	v_mad_u64_u32 v[0:1], s[0:1], v6, s0, 0
	s_add_u32 s0, s10, s8
	s_addc_u32 s1, s11, s9
	v_mov_b32_e32 v2, s1
	v_cmp_lt_i64_e32 vcc, s[0:1], v[0:1]
	v_cndmask_b32_e32 v1, v1, v2, vcc
	v_mov_b32_e32 v2, s0
	v_cndmask_b32_e32 v0, v0, v2, vcc
	v_mov_b32_e32 v3, s11
	v_subrev_co_u32_e32 v2, vcc, s10, v0
	v_subb_co_u32_e32 v3, vcc, v1, v3, vcc
	v_cmp_lt_i64_e32 vcc, 0, v[2:3]
	v_cndmask_b32_e32 v3, 0, v3, vcc
	v_cndmask_b32_e32 v2, 0, v2, vcc
	v_mov_b32_e32 v4, s9
	v_cmp_lt_i64_e32 vcc, s[8:9], v[0:1]
	v_cndmask_b32_e32 v5, v1, v4, vcc
	v_mov_b32_e32 v4, s8
	v_cndmask_b32_e32 v4, v0, v4, vcc
	v_mov_b32_e32 v7, 0
	s_mov_b64 s[0:1], 0
	v_cmp_lt_i64_e32 vcc, v[2:3], v[4:5]
	s_and_saveexec_b64 s[4:5], vcc
	s_cbranch_execz .LBB24_43
; %bb.40:
	v_lshlrev_b64 v[8:9], 2, v[0:1]
	v_mov_b32_e32 v10, s3
	v_add_co_u32_e32 v8, vcc, s2, v8
	v_addc_co_u32_e32 v9, vcc, v10, v9, vcc
	v_mov_b32_e32 v10, s15
.LBB24_41:                              ; =>This Inner Loop Header: Depth=1
	v_add_co_u32_e32 v12, vcc, v4, v2
	v_addc_co_u32_e32 v13, vcc, v5, v3, vcc
	v_ashrrev_i64 v[12:13], 1, v[12:13]
	v_lshlrev_b64 v[14:15], 2, v[12:13]
	v_not_b32_e32 v17, v13
	v_not_b32_e32 v16, v12
	v_add_co_u32_e32 v14, vcc, s14, v14
	v_addc_co_u32_e32 v15, vcc, v10, v15, vcc
	v_lshlrev_b64 v[16:17], 2, v[16:17]
	global_load_dword v11, v[14:15], off
	v_add_co_u32_e32 v14, vcc, v8, v16
	v_addc_co_u32_e32 v15, vcc, v9, v17, vcc
	global_load_dword v14, v[14:15], off
	v_add_co_u32_e32 v15, vcc, 1, v12
	v_addc_co_u32_e32 v16, vcc, 0, v13, vcc
	s_waitcnt vmcnt(0)
	v_cmp_lt_i32_e32 vcc, v14, v11
	v_cndmask_b32_e32 v5, v5, v13, vcc
	v_cndmask_b32_e32 v4, v4, v12, vcc
	;; [unrolled: 1-line block ×4, first 2 shown]
	v_cmp_ge_i64_e32 vcc, v[2:3], v[4:5]
	s_or_b64 s[0:1], vcc, s[0:1]
	s_andn2_b64 exec, exec, s[0:1]
	s_cbranch_execnz .LBB24_41
; %bb.42:
	s_or_b64 exec, exec, s[0:1]
.LBB24_43:
	s_or_b64 exec, exec, s[4:5]
	v_sub_co_u32_e32 v10, vcc, v0, v2
	v_subb_co_u32_e32 v11, vcc, v1, v3, vcc
	v_cmp_gt_i64_e32 vcc, s[10:11], v[10:11]
	v_pk_mov_b32 v[8:9], 0, 0
	s_and_saveexec_b64 s[4:5], vcc
	s_cbranch_execz .LBB24_73
; %bb.44:
	v_lshlrev_b64 v[4:5], 2, v[10:11]
	v_mov_b32_e32 v9, s3
	v_add_co_u32_e32 v8, vcc, s2, v4
	v_addc_co_u32_e32 v9, vcc, v9, v5, vcc
	global_load_dword v18, v[8:9], off
	v_cmp_lt_i64_e32 vcc, 0, v[2:3]
	v_pk_mov_b32 v[4:5], 0, 0
	v_pk_mov_b32 v[12:13], v[2:3], v[2:3] op_sel:[0,1]
	s_and_saveexec_b64 s[0:1], vcc
	s_cbranch_execnz .LBB24_49
; %bb.45:
	s_or_b64 exec, exec, s[0:1]
	v_cmp_lt_i64_e32 vcc, v[4:5], v[12:13]
	s_and_saveexec_b64 s[0:1], vcc
	s_cbranch_execnz .LBB24_50
.LBB24_46:
	s_or_b64 exec, exec, s[0:1]
	v_cmp_lt_i64_e32 vcc, v[4:5], v[12:13]
	s_and_saveexec_b64 s[0:1], vcc
	s_cbranch_execnz .LBB24_51
.LBB24_47:
	s_or_b64 exec, exec, s[0:1]
	v_cmp_lt_i64_e32 vcc, v[4:5], v[12:13]
	s_and_saveexec_b64 s[0:1], vcc
	s_cbranch_execnz .LBB24_52
.LBB24_48:
	s_or_b64 exec, exec, s[0:1]
	v_cmp_lt_i64_e32 vcc, v[4:5], v[12:13]
	s_and_saveexec_b64 s[0:1], vcc
	s_cbranch_execnz .LBB24_53
	s_branch .LBB24_56
.LBB24_49:
	s_movk_i32 s8, 0x1ff
	v_mad_u64_u32 v[4:5], s[6:7], v2, s8, 0
	v_mov_b32_e32 v12, v5
	v_mad_u64_u32 v[12:13], s[6:7], v3, s8, v[12:13]
	v_mov_b32_e32 v5, v12
	v_lshrrev_b64 v[12:13], 9, v[4:5]
	v_lshlrev_b64 v[4:5], 2, v[12:13]
	v_mov_b32_e32 v14, s15
	v_add_co_u32_e32 v4, vcc, s14, v4
	v_addc_co_u32_e32 v5, vcc, v14, v5, vcc
	global_load_dword v4, v[4:5], off
	v_add_co_u32_e32 v14, vcc, 1, v12
	v_addc_co_u32_e32 v5, vcc, 0, v13, vcc
	s_waitcnt vmcnt(0)
	v_cmp_lt_i32_e32 vcc, v4, v18
	v_cndmask_b32_e32 v5, 0, v5, vcc
	v_cndmask_b32_e32 v4, 0, v14, vcc
	;; [unrolled: 1-line block ×4, first 2 shown]
	s_or_b64 exec, exec, s[0:1]
	v_cmp_lt_i64_e32 vcc, v[4:5], v[12:13]
	s_and_saveexec_b64 s[0:1], vcc
	s_cbranch_execz .LBB24_46
.LBB24_50:
	s_movk_i32 s8, 0x7f
	v_mad_u64_u32 v[14:15], s[6:7], v12, s8, v[4:5]
	v_mov_b32_e32 v16, v15
	v_mad_u64_u32 v[16:17], s[6:7], v13, s8, v[16:17]
	v_mov_b32_e32 v15, v16
	v_lshrrev_b64 v[14:15], 7, v[14:15]
	v_lshlrev_b64 v[16:17], 2, v[14:15]
	v_mov_b32_e32 v19, s15
	v_add_co_u32_e32 v16, vcc, s14, v16
	v_addc_co_u32_e32 v17, vcc, v19, v17, vcc
	global_load_dword v16, v[16:17], off
	v_add_co_u32_e32 v17, vcc, 1, v14
	v_addc_co_u32_e32 v19, vcc, 0, v15, vcc
	s_waitcnt vmcnt(0)
	v_cmp_lt_i32_e32 vcc, v16, v18
	v_cndmask_b32_e32 v5, v5, v19, vcc
	v_cndmask_b32_e32 v4, v4, v17, vcc
	;; [unrolled: 1-line block ×4, first 2 shown]
	s_or_b64 exec, exec, s[0:1]
	v_cmp_lt_i64_e32 vcc, v[4:5], v[12:13]
	s_and_saveexec_b64 s[0:1], vcc
	s_cbranch_execz .LBB24_47
.LBB24_51:
	v_mad_u64_u32 v[14:15], s[6:7], v12, 31, v[4:5]
	v_mov_b32_e32 v16, v15
	v_mad_u64_u32 v[16:17], s[6:7], v13, 31, v[16:17]
	v_mov_b32_e32 v15, v16
	v_lshrrev_b64 v[14:15], 5, v[14:15]
	v_lshlrev_b64 v[16:17], 2, v[14:15]
	v_mov_b32_e32 v19, s15
	v_add_co_u32_e32 v16, vcc, s14, v16
	v_addc_co_u32_e32 v17, vcc, v19, v17, vcc
	global_load_dword v16, v[16:17], off
	v_add_co_u32_e32 v17, vcc, 1, v14
	v_addc_co_u32_e32 v19, vcc, 0, v15, vcc
	s_waitcnt vmcnt(0)
	v_cmp_lt_i32_e32 vcc, v16, v18
	v_cndmask_b32_e32 v5, v5, v19, vcc
	v_cndmask_b32_e32 v4, v4, v17, vcc
	;; [unrolled: 1-line block ×4, first 2 shown]
	s_or_b64 exec, exec, s[0:1]
	v_cmp_lt_i64_e32 vcc, v[4:5], v[12:13]
	s_and_saveexec_b64 s[0:1], vcc
	s_cbranch_execz .LBB24_48
.LBB24_52:
	v_mad_u64_u32 v[14:15], s[6:7], v12, 15, v[4:5]
	v_mov_b32_e32 v16, v15
	v_mad_u64_u32 v[16:17], s[6:7], v13, 15, v[16:17]
	v_mov_b32_e32 v15, v16
	v_lshrrev_b64 v[14:15], 4, v[14:15]
	v_lshlrev_b64 v[16:17], 2, v[14:15]
	v_mov_b32_e32 v19, s15
	v_add_co_u32_e32 v16, vcc, s14, v16
	v_addc_co_u32_e32 v17, vcc, v19, v17, vcc
	global_load_dword v16, v[16:17], off
	v_add_co_u32_e32 v17, vcc, 1, v14
	v_addc_co_u32_e32 v19, vcc, 0, v15, vcc
	s_waitcnt vmcnt(0)
	v_cmp_lt_i32_e32 vcc, v16, v18
	v_cndmask_b32_e32 v5, v5, v19, vcc
	v_cndmask_b32_e32 v4, v4, v17, vcc
	;; [unrolled: 1-line block ×4, first 2 shown]
	s_or_b64 exec, exec, s[0:1]
	v_cmp_lt_i64_e32 vcc, v[4:5], v[12:13]
	s_and_saveexec_b64 s[0:1], vcc
	s_cbranch_execz .LBB24_56
.LBB24_53:
	s_mov_b64 s[6:7], 0
	v_mov_b32_e32 v14, s15
.LBB24_54:                              ; =>This Inner Loop Header: Depth=1
	v_add_co_u32_e32 v16, vcc, v4, v12
	v_addc_co_u32_e32 v17, vcc, v5, v13, vcc
	v_ashrrev_i64 v[16:17], 1, v[16:17]
	v_lshlrev_b64 v[20:21], 2, v[16:17]
	v_add_co_u32_e32 v20, vcc, s14, v20
	v_addc_co_u32_e32 v21, vcc, v14, v21, vcc
	global_load_dword v15, v[20:21], off
	v_add_co_u32_e32 v19, vcc, 1, v16
	v_addc_co_u32_e32 v20, vcc, 0, v17, vcc
	s_waitcnt vmcnt(0)
	v_cmp_lt_i32_e32 vcc, v15, v18
	v_cndmask_b32_e32 v5, v5, v20, vcc
	v_cndmask_b32_e32 v4, v4, v19, vcc
	;; [unrolled: 1-line block ×4, first 2 shown]
	v_cmp_ge_i64_e32 vcc, v[4:5], v[12:13]
	s_or_b64 s[6:7], vcc, s[6:7]
	s_andn2_b64 exec, exec, s[6:7]
	s_cbranch_execnz .LBB24_54
; %bb.55:
	s_or_b64 exec, exec, s[6:7]
.LBB24_56:
	s_or_b64 exec, exec, s[0:1]
	v_cmp_lt_i64_e32 vcc, 0, v[10:11]
	v_pk_mov_b32 v[12:13], 0, 0
	v_pk_mov_b32 v[14:15], v[10:11], v[10:11] op_sel:[0,1]
	s_and_saveexec_b64 s[0:1], vcc
	s_cbranch_execnz .LBB24_61
; %bb.57:
	s_or_b64 exec, exec, s[0:1]
	v_cmp_lt_i64_e32 vcc, v[12:13], v[14:15]
	s_and_saveexec_b64 s[0:1], vcc
	s_cbranch_execnz .LBB24_62
.LBB24_58:
	s_or_b64 exec, exec, s[0:1]
	v_cmp_lt_i64_e32 vcc, v[12:13], v[14:15]
	s_and_saveexec_b64 s[0:1], vcc
	s_cbranch_execnz .LBB24_63
.LBB24_59:
	s_or_b64 exec, exec, s[0:1]
	v_cmp_lt_i64_e32 vcc, v[12:13], v[14:15]
	s_and_saveexec_b64 s[0:1], vcc
	s_cbranch_execnz .LBB24_64
.LBB24_60:
	s_or_b64 exec, exec, s[0:1]
	v_cmp_lt_i64_e32 vcc, v[12:13], v[14:15]
	s_and_saveexec_b64 s[0:1], vcc
	s_cbranch_execnz .LBB24_65
	s_branch .LBB24_68
.LBB24_61:
	s_movk_i32 s8, 0x1ff
	v_mad_u64_u32 v[12:13], s[6:7], v10, s8, 0
	v_mov_b32_e32 v14, v13
	v_mad_u64_u32 v[14:15], s[6:7], v11, s8, v[14:15]
	v_mov_b32_e32 v13, v14
	v_lshrrev_b64 v[14:15], 9, v[12:13]
	v_lshlrev_b64 v[12:13], 2, v[14:15]
	v_mov_b32_e32 v16, s3
	v_add_co_u32_e32 v12, vcc, s2, v12
	v_addc_co_u32_e32 v13, vcc, v16, v13, vcc
	global_load_dword v12, v[12:13], off
	v_add_co_u32_e32 v16, vcc, 1, v14
	v_addc_co_u32_e32 v13, vcc, 0, v15, vcc
	s_waitcnt vmcnt(0)
	v_cmp_lt_i32_e32 vcc, v12, v18
	v_cndmask_b32_e32 v13, 0, v13, vcc
	v_cndmask_b32_e32 v12, 0, v16, vcc
	;; [unrolled: 1-line block ×4, first 2 shown]
	s_or_b64 exec, exec, s[0:1]
	v_cmp_lt_i64_e32 vcc, v[12:13], v[14:15]
	s_and_saveexec_b64 s[0:1], vcc
	s_cbranch_execz .LBB24_58
.LBB24_62:
	s_movk_i32 s8, 0x7f
	v_mad_u64_u32 v[16:17], s[6:7], v14, s8, v[12:13]
	v_mov_b32_e32 v20, v17
	v_mad_u64_u32 v[20:21], s[6:7], v15, s8, v[20:21]
	v_mov_b32_e32 v17, v20
	v_lshrrev_b64 v[16:17], 7, v[16:17]
	v_lshlrev_b64 v[20:21], 2, v[16:17]
	v_mov_b32_e32 v19, s3
	v_add_co_u32_e32 v20, vcc, s2, v20
	v_addc_co_u32_e32 v21, vcc, v19, v21, vcc
	global_load_dword v19, v[20:21], off
	v_add_co_u32_e32 v20, vcc, 1, v16
	v_addc_co_u32_e32 v21, vcc, 0, v17, vcc
	s_waitcnt vmcnt(0)
	v_cmp_lt_i32_e32 vcc, v19, v18
	v_cndmask_b32_e32 v13, v13, v21, vcc
	v_cndmask_b32_e32 v12, v12, v20, vcc
	;; [unrolled: 1-line block ×4, first 2 shown]
	s_or_b64 exec, exec, s[0:1]
	v_cmp_lt_i64_e32 vcc, v[12:13], v[14:15]
	s_and_saveexec_b64 s[0:1], vcc
	s_cbranch_execz .LBB24_59
.LBB24_63:
	v_mad_u64_u32 v[16:17], s[6:7], v14, 31, v[12:13]
	v_mov_b32_e32 v20, v17
	v_mad_u64_u32 v[20:21], s[6:7], v15, 31, v[20:21]
	v_mov_b32_e32 v17, v20
	v_lshrrev_b64 v[16:17], 5, v[16:17]
	v_lshlrev_b64 v[20:21], 2, v[16:17]
	v_mov_b32_e32 v19, s3
	v_add_co_u32_e32 v20, vcc, s2, v20
	v_addc_co_u32_e32 v21, vcc, v19, v21, vcc
	global_load_dword v19, v[20:21], off
	v_add_co_u32_e32 v20, vcc, 1, v16
	v_addc_co_u32_e32 v21, vcc, 0, v17, vcc
	s_waitcnt vmcnt(0)
	v_cmp_lt_i32_e32 vcc, v19, v18
	v_cndmask_b32_e32 v13, v13, v21, vcc
	v_cndmask_b32_e32 v12, v12, v20, vcc
	;; [unrolled: 1-line block ×4, first 2 shown]
	s_or_b64 exec, exec, s[0:1]
	v_cmp_lt_i64_e32 vcc, v[12:13], v[14:15]
	s_and_saveexec_b64 s[0:1], vcc
	s_cbranch_execz .LBB24_60
.LBB24_64:
	v_mad_u64_u32 v[16:17], s[6:7], v14, 15, v[12:13]
	v_mov_b32_e32 v20, v17
	v_mad_u64_u32 v[20:21], s[6:7], v15, 15, v[20:21]
	v_mov_b32_e32 v17, v20
	v_lshrrev_b64 v[16:17], 4, v[16:17]
	v_lshlrev_b64 v[20:21], 2, v[16:17]
	v_mov_b32_e32 v19, s3
	v_add_co_u32_e32 v20, vcc, s2, v20
	v_addc_co_u32_e32 v21, vcc, v19, v21, vcc
	global_load_dword v19, v[20:21], off
	v_add_co_u32_e32 v20, vcc, 1, v16
	v_addc_co_u32_e32 v21, vcc, 0, v17, vcc
	s_waitcnt vmcnt(0)
	v_cmp_lt_i32_e32 vcc, v19, v18
	v_cndmask_b32_e32 v13, v13, v21, vcc
	v_cndmask_b32_e32 v12, v12, v20, vcc
	v_cndmask_b32_e32 v15, v17, v15, vcc
	v_cndmask_b32_e32 v14, v16, v14, vcc
	s_or_b64 exec, exec, s[0:1]
	v_cmp_lt_i64_e32 vcc, v[12:13], v[14:15]
	s_and_saveexec_b64 s[0:1], vcc
	s_cbranch_execz .LBB24_68
.LBB24_65:
	s_mov_b64 s[6:7], 0
	v_mov_b32_e32 v16, s3
.LBB24_66:                              ; =>This Inner Loop Header: Depth=1
	v_add_co_u32_e32 v20, vcc, v12, v14
	v_addc_co_u32_e32 v21, vcc, v13, v15, vcc
	v_ashrrev_i64 v[20:21], 1, v[20:21]
	v_lshlrev_b64 v[22:23], 2, v[20:21]
	v_add_co_u32_e32 v22, vcc, s2, v22
	v_addc_co_u32_e32 v23, vcc, v16, v23, vcc
	global_load_dword v17, v[22:23], off
	v_add_co_u32_e32 v19, vcc, 1, v20
	v_addc_co_u32_e32 v22, vcc, 0, v21, vcc
	s_waitcnt vmcnt(0)
	v_cmp_lt_i32_e32 vcc, v17, v18
	v_cndmask_b32_e32 v13, v13, v22, vcc
	v_cndmask_b32_e32 v12, v12, v19, vcc
	;; [unrolled: 1-line block ×4, first 2 shown]
	v_cmp_ge_i64_e32 vcc, v[12:13], v[14:15]
	s_or_b64 s[6:7], vcc, s[6:7]
	s_andn2_b64 exec, exec, s[6:7]
	s_cbranch_execnz .LBB24_66
; %bb.67:
	s_or_b64 exec, exec, s[6:7]
.LBB24_68:
	s_or_b64 exec, exec, s[0:1]
	v_sub_co_u32_e32 v2, vcc, v2, v4
	v_subb_co_u32_e32 v3, vcc, v3, v5, vcc
	v_sub_co_u32_e32 v16, vcc, v10, v12
	v_subb_co_u32_e32 v17, vcc, v11, v13, vcc
	v_add_co_u32_e32 v14, vcc, v16, v2
	v_addc_co_u32_e32 v15, vcc, v17, v3, vcc
	v_ashrrev_i64 v[2:3], 1, v[14:15]
	v_cmp_gt_i64_e32 vcc, v[2:3], v[16:17]
	v_cndmask_b32_e32 v2, v16, v2, vcc
	v_cndmask_b32_e32 v3, v17, v3, vcc
	v_add_co_u32_e32 v12, vcc, v12, v2
	v_addc_co_u32_e32 v13, vcc, v13, v3, vcc
	v_add_co_u32_e32 v12, vcc, 1, v12
	v_addc_co_u32_e32 v13, vcc, 0, v13, vcc
	v_mov_b32_e32 v19, s11
	v_cmp_gt_i64_e32 vcc, s[10:11], v[12:13]
	v_cndmask_b32_e32 v13, v19, v13, vcc
	v_mov_b32_e32 v19, s10
	v_cndmask_b32_e32 v12, v19, v12, vcc
	v_sub_co_u32_e32 v12, vcc, v12, v10
	v_subb_co_u32_e32 v13, vcc, v13, v11, vcc
	s_mov_b64 s[2:3], 0
	v_cmp_lt_i64_e32 vcc, 0, v[12:13]
	v_pk_mov_b32 v[10:11], 0, 0
	s_and_saveexec_b64 s[0:1], vcc
	s_cbranch_execz .LBB24_72
; %bb.69:
	v_pk_mov_b32 v[10:11], 0, 0
.LBB24_70:                              ; =>This Inner Loop Header: Depth=1
	v_add_co_u32_e32 v20, vcc, v10, v12
	v_addc_co_u32_e32 v21, vcc, v11, v13, vcc
	v_ashrrev_i64 v[20:21], 1, v[20:21]
	v_lshlrev_b64 v[22:23], 2, v[20:21]
	v_add_co_u32_e32 v22, vcc, v8, v22
	v_addc_co_u32_e32 v23, vcc, v9, v23, vcc
	global_load_dword v19, v[22:23], off
	v_add_co_u32_e32 v22, vcc, 1, v20
	v_addc_co_u32_e32 v23, vcc, 0, v21, vcc
	s_waitcnt vmcnt(0)
	v_cmp_gt_i32_e32 vcc, v19, v18
	v_cndmask_b32_e32 v11, v23, v11, vcc
	v_cndmask_b32_e32 v10, v22, v10, vcc
	v_cndmask_b32_e32 v13, v13, v21, vcc
	v_cndmask_b32_e32 v12, v12, v20, vcc
	v_cmp_ge_i64_e32 vcc, v[10:11], v[12:13]
	s_or_b64 s[2:3], vcc, s[2:3]
	s_andn2_b64 exec, exec, s[2:3]
	s_cbranch_execnz .LBB24_70
; %bb.71:
	s_or_b64 exec, exec, s[2:3]
	v_ashrrev_i32_e32 v11, 31, v10
.LBB24_72:
	s_or_b64 exec, exec, s[0:1]
	v_add_co_u32_e32 v8, vcc, v10, v16
	v_addc_co_u32_e32 v9, vcc, v11, v17, vcc
	v_cmp_lt_i64_e32 vcc, v[8:9], v[2:3]
	v_cndmask_b32_e32 v12, v2, v8, vcc
	v_cndmask_b32_e32 v13, v3, v9, vcc
	v_sub_co_u32_e32 v10, vcc, v14, v12
	v_subb_co_u32_e32 v11, vcc, v15, v13, vcc
	v_add_co_u32_e32 v12, vcc, 1, v12
	v_addc_co_u32_e32 v13, vcc, 0, v13, vcc
	v_cmp_eq_u64_e32 vcc, v[10:11], v[12:13]
	v_cmp_lt_i64_e64 s[0:1], v[2:3], v[8:9]
	s_and_b64 s[0:1], vcc, s[0:1]
	v_cndmask_b32_e64 v8, 0, 1, s[0:1]
	s_mov_b32 s0, 0
	v_add_co_u32_e32 v2, vcc, v10, v4
	v_mov_b32_e32 v9, s0
	v_addc_co_u32_e32 v3, vcc, v11, v5, vcc
.LBB24_73:
	s_or_b64 exec, exec, s[4:5]
	v_add_co_u32_e32 v0, vcc, v8, v0
	v_addc_co_u32_e32 v1, vcc, v9, v1, vcc
	v_sub_co_u32_e32 v4, vcc, v0, v2
	v_subb_co_u32_e32 v5, vcc, v1, v3, vcc
	s_mov_b64 s[0:1], -1
.LBB24_74:
	s_and_saveexec_b64 s[2:3], s[0:1]
	s_cbranch_execnz .LBB24_76
; %bb.75:
	s_endpgm
.LBB24_76:
	v_lshlrev_b64 v[0:1], 4, v[6:7]
	v_mov_b32_e32 v6, s13
	v_add_co_u32_e32 v0, vcc, s12, v0
	v_addc_co_u32_e32 v1, vcc, v6, v1, vcc
	global_store_dwordx4 v[0:1], v[2:5], off
	s_endpgm
	.section	.rodata,"a",@progbits
	.p2align	6, 0x0
	.amdhsa_kernel _ZN6thrust23THRUST_200600_302600_NS11hip_rocprim14__parallel_for6kernelILj256EZNS1_16__set_operations9doit_stepILb0ENS0_6detail15normal_iteratorINS0_10device_ptrIKiEEEESB_PiSC_lNS7_INS8_IiEEEESC_NS0_4lessIiEENS4_21serial_set_differenceEEE10hipError_tPvRmT0_T1_T2_T3_T4_SP_T5_T6_PSP_T7_T8_P12ihipStream_tbEUllE_jLj1EEEvSL_SM_SM_
		.amdhsa_group_segment_fixed_size 0
		.amdhsa_private_segment_fixed_size 0
		.amdhsa_kernarg_size 56
		.amdhsa_user_sgpr_count 6
		.amdhsa_user_sgpr_private_segment_buffer 1
		.amdhsa_user_sgpr_dispatch_ptr 0
		.amdhsa_user_sgpr_queue_ptr 0
		.amdhsa_user_sgpr_kernarg_segment_ptr 1
		.amdhsa_user_sgpr_dispatch_id 0
		.amdhsa_user_sgpr_flat_scratch_init 0
		.amdhsa_user_sgpr_kernarg_preload_length 0
		.amdhsa_user_sgpr_kernarg_preload_offset 0
		.amdhsa_user_sgpr_private_segment_size 0
		.amdhsa_uses_dynamic_stack 0
		.amdhsa_system_sgpr_private_segment_wavefront_offset 0
		.amdhsa_system_sgpr_workgroup_id_x 1
		.amdhsa_system_sgpr_workgroup_id_y 0
		.amdhsa_system_sgpr_workgroup_id_z 0
		.amdhsa_system_sgpr_workgroup_info 0
		.amdhsa_system_vgpr_workitem_id 0
		.amdhsa_next_free_vgpr 25
		.amdhsa_next_free_sgpr 22
		.amdhsa_accum_offset 28
		.amdhsa_reserve_vcc 1
		.amdhsa_reserve_flat_scratch 0
		.amdhsa_float_round_mode_32 0
		.amdhsa_float_round_mode_16_64 0
		.amdhsa_float_denorm_mode_32 3
		.amdhsa_float_denorm_mode_16_64 3
		.amdhsa_dx10_clamp 1
		.amdhsa_ieee_mode 1
		.amdhsa_fp16_overflow 0
		.amdhsa_tg_split 0
		.amdhsa_exception_fp_ieee_invalid_op 0
		.amdhsa_exception_fp_denorm_src 0
		.amdhsa_exception_fp_ieee_div_zero 0
		.amdhsa_exception_fp_ieee_overflow 0
		.amdhsa_exception_fp_ieee_underflow 0
		.amdhsa_exception_fp_ieee_inexact 0
		.amdhsa_exception_int_div_zero 0
	.end_amdhsa_kernel
	.section	.text._ZN6thrust23THRUST_200600_302600_NS11hip_rocprim14__parallel_for6kernelILj256EZNS1_16__set_operations9doit_stepILb0ENS0_6detail15normal_iteratorINS0_10device_ptrIKiEEEESB_PiSC_lNS7_INS8_IiEEEESC_NS0_4lessIiEENS4_21serial_set_differenceEEE10hipError_tPvRmT0_T1_T2_T3_T4_SP_T5_T6_PSP_T7_T8_P12ihipStream_tbEUllE_jLj1EEEvSL_SM_SM_,"axG",@progbits,_ZN6thrust23THRUST_200600_302600_NS11hip_rocprim14__parallel_for6kernelILj256EZNS1_16__set_operations9doit_stepILb0ENS0_6detail15normal_iteratorINS0_10device_ptrIKiEEEESB_PiSC_lNS7_INS8_IiEEEESC_NS0_4lessIiEENS4_21serial_set_differenceEEE10hipError_tPvRmT0_T1_T2_T3_T4_SP_T5_T6_PSP_T7_T8_P12ihipStream_tbEUllE_jLj1EEEvSL_SM_SM_,comdat
.Lfunc_end24:
	.size	_ZN6thrust23THRUST_200600_302600_NS11hip_rocprim14__parallel_for6kernelILj256EZNS1_16__set_operations9doit_stepILb0ENS0_6detail15normal_iteratorINS0_10device_ptrIKiEEEESB_PiSC_lNS7_INS8_IiEEEESC_NS0_4lessIiEENS4_21serial_set_differenceEEE10hipError_tPvRmT0_T1_T2_T3_T4_SP_T5_T6_PSP_T7_T8_P12ihipStream_tbEUllE_jLj1EEEvSL_SM_SM_, .Lfunc_end24-_ZN6thrust23THRUST_200600_302600_NS11hip_rocprim14__parallel_for6kernelILj256EZNS1_16__set_operations9doit_stepILb0ENS0_6detail15normal_iteratorINS0_10device_ptrIKiEEEESB_PiSC_lNS7_INS8_IiEEEESC_NS0_4lessIiEENS4_21serial_set_differenceEEE10hipError_tPvRmT0_T1_T2_T3_T4_SP_T5_T6_PSP_T7_T8_P12ihipStream_tbEUllE_jLj1EEEvSL_SM_SM_
                                        ; -- End function
	.section	.AMDGPU.csdata,"",@progbits
; Kernel info:
; codeLenInByte = 3988
; NumSgprs: 26
; NumVgprs: 25
; NumAgprs: 0
; TotalNumVgprs: 25
; ScratchSize: 0
; MemoryBound: 0
; FloatMode: 240
; IeeeMode: 1
; LDSByteSize: 0 bytes/workgroup (compile time only)
; SGPRBlocks: 3
; VGPRBlocks: 3
; NumSGPRsForWavesPerEU: 26
; NumVGPRsForWavesPerEU: 25
; AccumOffset: 28
; Occupancy: 8
; WaveLimiterHint : 0
; COMPUTE_PGM_RSRC2:SCRATCH_EN: 0
; COMPUTE_PGM_RSRC2:USER_SGPR: 6
; COMPUTE_PGM_RSRC2:TRAP_HANDLER: 0
; COMPUTE_PGM_RSRC2:TGID_X_EN: 1
; COMPUTE_PGM_RSRC2:TGID_Y_EN: 0
; COMPUTE_PGM_RSRC2:TGID_Z_EN: 0
; COMPUTE_PGM_RSRC2:TIDIG_COMP_CNT: 0
; COMPUTE_PGM_RSRC3_GFX90A:ACCUM_OFFSET: 6
; COMPUTE_PGM_RSRC3_GFX90A:TG_SPLIT: 0
	.section	.text._ZN6thrust23THRUST_200600_302600_NS11hip_rocprim16__set_operations22lookback_set_op_kernelIN7rocprim17ROCPRIM_400000_NS13kernel_configILj256ELj16ELj4294967295EEELb0ENS0_6detail15normal_iteratorINS0_10device_ptrIKiEEEESD_PiSE_lNS9_INSA_IiEEEESE_NS0_4lessIiEENS2_21serial_set_differenceENS5_6detail19lookback_scan_stateIlLb0ELb1EEEEEvT1_T2_T3_T4_T6_T7_T8_T9_PNS0_4pairIT5_SW_EEPSW_T10_NSK_16ordered_block_idIjEE,"axG",@progbits,_ZN6thrust23THRUST_200600_302600_NS11hip_rocprim16__set_operations22lookback_set_op_kernelIN7rocprim17ROCPRIM_400000_NS13kernel_configILj256ELj16ELj4294967295EEELb0ENS0_6detail15normal_iteratorINS0_10device_ptrIKiEEEESD_PiSE_lNS9_INSA_IiEEEESE_NS0_4lessIiEENS2_21serial_set_differenceENS5_6detail19lookback_scan_stateIlLb0ELb1EEEEEvT1_T2_T3_T4_T6_T7_T8_T9_PNS0_4pairIT5_SW_EEPSW_T10_NSK_16ordered_block_idIjEE,comdat
	.protected	_ZN6thrust23THRUST_200600_302600_NS11hip_rocprim16__set_operations22lookback_set_op_kernelIN7rocprim17ROCPRIM_400000_NS13kernel_configILj256ELj16ELj4294967295EEELb0ENS0_6detail15normal_iteratorINS0_10device_ptrIKiEEEESD_PiSE_lNS9_INSA_IiEEEESE_NS0_4lessIiEENS2_21serial_set_differenceENS5_6detail19lookback_scan_stateIlLb0ELb1EEEEEvT1_T2_T3_T4_T6_T7_T8_T9_PNS0_4pairIT5_SW_EEPSW_T10_NSK_16ordered_block_idIjEE ; -- Begin function _ZN6thrust23THRUST_200600_302600_NS11hip_rocprim16__set_operations22lookback_set_op_kernelIN7rocprim17ROCPRIM_400000_NS13kernel_configILj256ELj16ELj4294967295EEELb0ENS0_6detail15normal_iteratorINS0_10device_ptrIKiEEEESD_PiSE_lNS9_INSA_IiEEEESE_NS0_4lessIiEENS2_21serial_set_differenceENS5_6detail19lookback_scan_stateIlLb0ELb1EEEEEvT1_T2_T3_T4_T6_T7_T8_T9_PNS0_4pairIT5_SW_EEPSW_T10_NSK_16ordered_block_idIjEE
	.globl	_ZN6thrust23THRUST_200600_302600_NS11hip_rocprim16__set_operations22lookback_set_op_kernelIN7rocprim17ROCPRIM_400000_NS13kernel_configILj256ELj16ELj4294967295EEELb0ENS0_6detail15normal_iteratorINS0_10device_ptrIKiEEEESD_PiSE_lNS9_INSA_IiEEEESE_NS0_4lessIiEENS2_21serial_set_differenceENS5_6detail19lookback_scan_stateIlLb0ELb1EEEEEvT1_T2_T3_T4_T6_T7_T8_T9_PNS0_4pairIT5_SW_EEPSW_T10_NSK_16ordered_block_idIjEE
	.p2align	8
	.type	_ZN6thrust23THRUST_200600_302600_NS11hip_rocprim16__set_operations22lookback_set_op_kernelIN7rocprim17ROCPRIM_400000_NS13kernel_configILj256ELj16ELj4294967295EEELb0ENS0_6detail15normal_iteratorINS0_10device_ptrIKiEEEESD_PiSE_lNS9_INSA_IiEEEESE_NS0_4lessIiEENS2_21serial_set_differenceENS5_6detail19lookback_scan_stateIlLb0ELb1EEEEEvT1_T2_T3_T4_T6_T7_T8_T9_PNS0_4pairIT5_SW_EEPSW_T10_NSK_16ordered_block_idIjEE,@function
_ZN6thrust23THRUST_200600_302600_NS11hip_rocprim16__set_operations22lookback_set_op_kernelIN7rocprim17ROCPRIM_400000_NS13kernel_configILj256ELj16ELj4294967295EEELb0ENS0_6detail15normal_iteratorINS0_10device_ptrIKiEEEESD_PiSE_lNS9_INSA_IiEEEESE_NS0_4lessIiEENS2_21serial_set_differenceENS5_6detail19lookback_scan_stateIlLb0ELb1EEEEEvT1_T2_T3_T4_T6_T7_T8_T9_PNS0_4pairIT5_SW_EEPSW_T10_NSK_16ordered_block_idIjEE: ; @_ZN6thrust23THRUST_200600_302600_NS11hip_rocprim16__set_operations22lookback_set_op_kernelIN7rocprim17ROCPRIM_400000_NS13kernel_configILj256ELj16ELj4294967295EEELb0ENS0_6detail15normal_iteratorINS0_10device_ptrIKiEEEESD_PiSE_lNS9_INSA_IiEEEESE_NS0_4lessIiEENS2_21serial_set_differenceENS5_6detail19lookback_scan_stateIlLb0ELb1EEEEEvT1_T2_T3_T4_T6_T7_T8_T9_PNS0_4pairIT5_SW_EEPSW_T10_NSK_16ordered_block_idIjEE
; %bb.0:
	s_load_dword s0, s[4:5], 0x64
	s_load_dword s16, s[4:5], 0x58
	s_load_dwordx8 s[8:15], s[4:5], 0x38
	v_bfe_u32 v1, v0, 10, 10
	v_bfe_u32 v2, v0, 20, 10
	s_waitcnt lgkmcnt(0)
	s_lshr_b32 s1, s0, 16
	s_and_b32 s0, s0, 0xffff
	v_mad_u32_u24 v1, v2, s1, v1
	v_and_b32_e32 v16, 0x3ff, v0
	v_mul_lo_u32 v1, v1, s0
	v_sub_u32_e32 v0, 0, v16
	v_cmp_eq_u32_e32 vcc, v1, v0
	s_and_saveexec_b64 s[0:1], vcc
	s_cbranch_execz .LBB25_4
; %bb.1:
	s_mov_b64 s[6:7], exec
	v_mbcnt_lo_u32_b32 v0, s6, 0
	v_mbcnt_hi_u32_b32 v0, s7, v0
	v_cmp_eq_u32_e32 vcc, 0, v0
                                        ; implicit-def: $vgpr1
	s_and_saveexec_b64 s[2:3], vcc
	s_cbranch_execz .LBB25_3
; %bb.2:
	s_bcnt1_i32_b64 s6, s[6:7]
	v_mov_b32_e32 v1, 0
	v_mov_b32_e32 v2, s6
	global_atomic_add v1, v1, v2, s[14:15] glc
.LBB25_3:
	s_or_b64 exec, exec, s[2:3]
	s_waitcnt vmcnt(0)
	v_readfirstlane_b32 s2, v1
	v_add_u32_e32 v0, s2, v0
	v_mov_b32_e32 v1, 0
	ds_write_b32 v1, v0 offset:36864
.LBB25_4:
	s_or_b64 exec, exec, s[0:1]
	v_mov_b32_e32 v8, 0
	s_waitcnt lgkmcnt(0)
	s_barrier
	ds_read_b32 v9, v8 offset:36864
	s_add_i32 s16, s16, -1
	s_waitcnt lgkmcnt(0)
	v_readfirstlane_b32 s14, v9
	s_ashr_i32 s15, s14, 31
	s_lshl_b64 s[0:1], s[14:15], 4
	s_add_u32 s0, s8, s0
	s_addc_u32 s1, s9, s1
	global_load_dwordx4 v[0:3], v8, s[0:1] offset:16
	global_load_dwordx4 v[4:7], v8, s[0:1]
	s_load_dwordx4 s[0:3], s[4:5], 0x0
	s_load_dwordx2 s[8:9], s[4:5], 0x20
	v_cmp_le_i32_e32 vcc, s16, v9
	s_and_b64 vcc, exec, vcc
	s_waitcnt lgkmcnt(0)
	v_mov_b32_e32 v8, s1
	v_mov_b32_e32 v10, s3
	s_waitcnt vmcnt(0)
	v_sub_u32_e32 v20, v0, v4
	v_lshlrev_b64 v[0:1], 2, v[4:5]
	v_add_co_u32_e64 v24, s[0:1], s0, v0
	v_sub_u32_e32 v21, v2, v6
	v_lshlrev_b64 v[2:3], 2, v[6:7]
	v_addc_co_u32_e64 v25, s[0:1], v8, v1, s[0:1]
	v_add_co_u32_e64 v22, s[0:1], s2, v2
	v_addc_co_u32_e64 v23, s[0:1], v10, v3, s[0:1]
	s_mov_b64 s[0:1], -1
	s_cbranch_vccz .LBB25_208
; %bb.5:
	v_add_u32_e32 v17, v21, v20
	v_cmp_lt_i32_e32 vcc, v16, v17
                                        ; implicit-def: $vgpr0_vgpr1_vgpr2_vgpr3_vgpr4_vgpr5_vgpr6_vgpr7_vgpr8_vgpr9_vgpr10_vgpr11_vgpr12_vgpr13_vgpr14_vgpr15
	s_and_saveexec_b64 s[0:1], vcc
	s_cbranch_execz .LBB25_7
; %bb.6:
	v_lshlrev_b32_e32 v0, 2, v16
	v_add_co_u32_e32 v2, vcc, v24, v0
	v_sub_u32_e32 v0, v16, v20
	v_ashrrev_i32_e32 v1, 31, v0
	v_addc_co_u32_e32 v3, vcc, 0, v25, vcc
	v_lshlrev_b64 v[0:1], 2, v[0:1]
	v_add_co_u32_e32 v0, vcc, v22, v0
	v_addc_co_u32_e32 v1, vcc, v23, v1, vcc
	v_cmp_lt_i32_e32 vcc, v16, v20
	v_cndmask_b32_e32 v1, v1, v3, vcc
	v_cndmask_b32_e32 v0, v0, v2, vcc
	global_load_dword v0, v[0:1], off
.LBB25_7:
	s_or_b64 exec, exec, s[0:1]
	v_add_u32_e32 v18, 0x100, v16
	v_cmp_lt_i32_e32 vcc, v18, v17
	s_and_saveexec_b64 s[0:1], vcc
	s_cbranch_execz .LBB25_9
; %bb.8:
	v_lshlrev_b32_e32 v1, 2, v16
	v_add_co_u32_e32 v1, vcc, v24, v1
	v_addc_co_u32_e32 v19, vcc, 0, v25, vcc
	v_ashrrev_i32_e32 v27, 31, v20
	v_sub_co_u32_e32 v26, vcc, v16, v20
	v_subb_co_u32_e32 v27, vcc, 0, v27, vcc
	v_lshlrev_b64 v[26:27], 2, v[26:27]
	v_add_co_u32_e32 v26, vcc, v22, v26
	v_addc_co_u32_e32 v27, vcc, v23, v27, vcc
	v_cmp_lt_i32_e32 vcc, v18, v20
	v_cndmask_b32_e32 v19, v27, v19, vcc
	v_cndmask_b32_e32 v18, v26, v1, vcc
	global_load_dword v1, v[18:19], off offset:1024
.LBB25_9:
	s_or_b64 exec, exec, s[0:1]
	v_add_u32_e32 v18, 0x200, v16
	v_cmp_lt_i32_e32 vcc, v18, v17
	s_and_saveexec_b64 s[0:1], vcc
	s_cbranch_execz .LBB25_11
; %bb.10:
	v_lshlrev_b32_e32 v2, 2, v16
	v_add_co_u32_e32 v2, vcc, v24, v2
	v_addc_co_u32_e32 v19, vcc, 0, v25, vcc
	v_ashrrev_i32_e32 v27, 31, v20
	v_sub_co_u32_e32 v26, vcc, v16, v20
	v_subb_co_u32_e32 v27, vcc, 0, v27, vcc
	v_lshlrev_b64 v[26:27], 2, v[26:27]
	v_add_co_u32_e32 v26, vcc, v22, v26
	v_addc_co_u32_e32 v27, vcc, v23, v27, vcc
	v_cmp_lt_i32_e32 vcc, v18, v20
	v_cndmask_b32_e32 v19, v27, v19, vcc
	v_cndmask_b32_e32 v18, v26, v2, vcc
	global_load_dword v2, v[18:19], off offset:2048
.LBB25_11:
	;; [unrolled: 20-line block ×3, first 2 shown]
	s_or_b64 exec, exec, s[0:1]
	v_or_b32_e32 v18, 0x400, v16
	v_cmp_lt_i32_e32 vcc, v18, v17
	s_and_saveexec_b64 s[0:1], vcc
	s_cbranch_execz .LBB25_15
; %bb.14:
	v_lshlrev_b32_e32 v4, 2, v18
	v_sub_u32_e32 v26, v18, v20
	v_add_co_u32_e32 v4, vcc, v24, v4
	v_ashrrev_i32_e32 v27, 31, v26
	v_addc_co_u32_e32 v19, vcc, 0, v25, vcc
	v_lshlrev_b64 v[26:27], 2, v[26:27]
	v_add_co_u32_e32 v26, vcc, v22, v26
	v_addc_co_u32_e32 v27, vcc, v23, v27, vcc
	v_cmp_lt_i32_e32 vcc, v18, v20
	v_cndmask_b32_e32 v19, v27, v19, vcc
	v_cndmask_b32_e32 v18, v26, v4, vcc
	global_load_dword v4, v[18:19], off
.LBB25_15:
	s_or_b64 exec, exec, s[0:1]
	v_add_u32_e32 v18, 0x500, v16
	v_cmp_lt_i32_e32 vcc, v18, v17
	s_and_saveexec_b64 s[0:1], vcc
	s_cbranch_execz .LBB25_17
; %bb.16:
	v_lshlrev_b32_e32 v5, 2, v18
	v_sub_u32_e32 v26, v18, v20
	v_add_co_u32_e32 v5, vcc, v24, v5
	v_ashrrev_i32_e32 v27, 31, v26
	v_addc_co_u32_e32 v19, vcc, 0, v25, vcc
	v_lshlrev_b64 v[26:27], 2, v[26:27]
	v_add_co_u32_e32 v26, vcc, v22, v26
	v_addc_co_u32_e32 v27, vcc, v23, v27, vcc
	v_cmp_lt_i32_e32 vcc, v18, v20
	v_cndmask_b32_e32 v19, v27, v19, vcc
	v_cndmask_b32_e32 v18, v26, v5, vcc
	global_load_dword v5, v[18:19], off
.LBB25_17:
	s_or_b64 exec, exec, s[0:1]
	v_add_u32_e32 v18, 0x600, v16
	v_cmp_lt_i32_e32 vcc, v18, v17
	s_and_saveexec_b64 s[0:1], vcc
	s_cbranch_execz .LBB25_19
; %bb.18:
	v_lshlrev_b32_e32 v6, 2, v18
	v_sub_u32_e32 v26, v18, v20
	v_add_co_u32_e32 v6, vcc, v24, v6
	v_ashrrev_i32_e32 v27, 31, v26
	v_addc_co_u32_e32 v19, vcc, 0, v25, vcc
	v_lshlrev_b64 v[26:27], 2, v[26:27]
	v_add_co_u32_e32 v26, vcc, v22, v26
	v_addc_co_u32_e32 v27, vcc, v23, v27, vcc
	v_cmp_lt_i32_e32 vcc, v18, v20
	v_cndmask_b32_e32 v19, v27, v19, vcc
	v_cndmask_b32_e32 v18, v26, v6, vcc
	global_load_dword v6, v[18:19], off
.LBB25_19:
	s_or_b64 exec, exec, s[0:1]
	v_add_u32_e32 v18, 0x700, v16
	v_cmp_lt_i32_e32 vcc, v18, v17
	s_and_saveexec_b64 s[0:1], vcc
	s_cbranch_execz .LBB25_21
; %bb.20:
	v_lshlrev_b32_e32 v7, 2, v18
	v_sub_u32_e32 v26, v18, v20
	v_add_co_u32_e32 v7, vcc, v24, v7
	v_ashrrev_i32_e32 v27, 31, v26
	v_addc_co_u32_e32 v19, vcc, 0, v25, vcc
	v_lshlrev_b64 v[26:27], 2, v[26:27]
	v_add_co_u32_e32 v26, vcc, v22, v26
	v_addc_co_u32_e32 v27, vcc, v23, v27, vcc
	v_cmp_lt_i32_e32 vcc, v18, v20
	v_cndmask_b32_e32 v19, v27, v19, vcc
	v_cndmask_b32_e32 v18, v26, v7, vcc
	global_load_dword v7, v[18:19], off
.LBB25_21:
	s_or_b64 exec, exec, s[0:1]
	v_or_b32_e32 v18, 0x800, v16
	v_cmp_lt_i32_e32 vcc, v18, v17
	s_and_saveexec_b64 s[0:1], vcc
	s_cbranch_execz .LBB25_23
; %bb.22:
	v_lshlrev_b32_e32 v8, 2, v18
	v_sub_u32_e32 v26, v18, v20
	v_add_co_u32_e32 v8, vcc, v24, v8
	v_ashrrev_i32_e32 v27, 31, v26
	v_addc_co_u32_e32 v19, vcc, 0, v25, vcc
	v_lshlrev_b64 v[26:27], 2, v[26:27]
	v_add_co_u32_e32 v26, vcc, v22, v26
	v_addc_co_u32_e32 v27, vcc, v23, v27, vcc
	v_cmp_lt_i32_e32 vcc, v18, v20
	v_cndmask_b32_e32 v19, v27, v19, vcc
	v_cndmask_b32_e32 v18, v26, v8, vcc
	global_load_dword v8, v[18:19], off
.LBB25_23:
	s_or_b64 exec, exec, s[0:1]
	v_add_u32_e32 v18, 0x900, v16
	v_cmp_lt_i32_e32 vcc, v18, v17
	s_and_saveexec_b64 s[0:1], vcc
	s_cbranch_execz .LBB25_25
; %bb.24:
	v_lshlrev_b32_e32 v9, 2, v18
	v_sub_u32_e32 v26, v18, v20
	v_add_co_u32_e32 v9, vcc, v24, v9
	v_ashrrev_i32_e32 v27, 31, v26
	v_addc_co_u32_e32 v19, vcc, 0, v25, vcc
	v_lshlrev_b64 v[26:27], 2, v[26:27]
	v_add_co_u32_e32 v26, vcc, v22, v26
	v_addc_co_u32_e32 v27, vcc, v23, v27, vcc
	v_cmp_lt_i32_e32 vcc, v18, v20
	v_cndmask_b32_e32 v19, v27, v19, vcc
	v_cndmask_b32_e32 v18, v26, v9, vcc
	global_load_dword v9, v[18:19], off
.LBB25_25:
	s_or_b64 exec, exec, s[0:1]
	v_add_u32_e32 v18, 0xa00, v16
	;; [unrolled: 19-line block ×3, first 2 shown]
	v_cmp_lt_i32_e32 vcc, v18, v17
	s_and_saveexec_b64 s[0:1], vcc
	s_cbranch_execz .LBB25_29
; %bb.28:
	v_lshlrev_b32_e32 v11, 2, v18
	v_sub_u32_e32 v26, v18, v20
	v_add_co_u32_e32 v11, vcc, v24, v11
	v_ashrrev_i32_e32 v27, 31, v26
	v_addc_co_u32_e32 v19, vcc, 0, v25, vcc
	v_lshlrev_b64 v[26:27], 2, v[26:27]
	v_add_co_u32_e32 v26, vcc, v22, v26
	v_addc_co_u32_e32 v27, vcc, v23, v27, vcc
	v_cmp_lt_i32_e32 vcc, v18, v20
	v_cndmask_b32_e32 v19, v27, v19, vcc
	v_cndmask_b32_e32 v18, v26, v11, vcc
	global_load_dword v11, v[18:19], off
.LBB25_29:
	s_or_b64 exec, exec, s[0:1]
	v_or_b32_e32 v18, 0xc00, v16
	v_cmp_lt_i32_e32 vcc, v18, v17
	s_and_saveexec_b64 s[0:1], vcc
	s_cbranch_execz .LBB25_31
; %bb.30:
	v_lshlrev_b32_e32 v12, 2, v18
	v_sub_u32_e32 v26, v18, v20
	v_add_co_u32_e32 v12, vcc, v24, v12
	v_ashrrev_i32_e32 v27, 31, v26
	v_addc_co_u32_e32 v19, vcc, 0, v25, vcc
	v_lshlrev_b64 v[26:27], 2, v[26:27]
	v_add_co_u32_e32 v26, vcc, v22, v26
	v_addc_co_u32_e32 v27, vcc, v23, v27, vcc
	v_cmp_lt_i32_e32 vcc, v18, v20
	v_cndmask_b32_e32 v19, v27, v19, vcc
	v_cndmask_b32_e32 v18, v26, v12, vcc
	global_load_dword v12, v[18:19], off
.LBB25_31:
	s_or_b64 exec, exec, s[0:1]
	v_add_u32_e32 v18, 0xd00, v16
	v_cmp_lt_i32_e32 vcc, v18, v17
	s_and_saveexec_b64 s[0:1], vcc
	s_cbranch_execz .LBB25_33
; %bb.32:
	v_lshlrev_b32_e32 v13, 2, v18
	v_sub_u32_e32 v26, v18, v20
	v_add_co_u32_e32 v13, vcc, v24, v13
	v_ashrrev_i32_e32 v27, 31, v26
	v_addc_co_u32_e32 v19, vcc, 0, v25, vcc
	v_lshlrev_b64 v[26:27], 2, v[26:27]
	v_add_co_u32_e32 v26, vcc, v22, v26
	v_addc_co_u32_e32 v27, vcc, v23, v27, vcc
	v_cmp_lt_i32_e32 vcc, v18, v20
	v_cndmask_b32_e32 v19, v27, v19, vcc
	v_cndmask_b32_e32 v18, v26, v13, vcc
	global_load_dword v13, v[18:19], off
.LBB25_33:
	s_or_b64 exec, exec, s[0:1]
	v_add_u32_e32 v18, 0xe00, v16
	;; [unrolled: 19-line block ×3, first 2 shown]
	v_cmp_lt_i32_e32 vcc, v18, v17
	s_and_saveexec_b64 s[0:1], vcc
	s_cbranch_execz .LBB25_37
; %bb.36:
	v_lshlrev_b32_e32 v15, 2, v18
	v_sub_u32_e32 v26, v18, v20
	v_add_co_u32_e32 v15, vcc, v24, v15
	v_ashrrev_i32_e32 v27, 31, v26
	v_addc_co_u32_e32 v19, vcc, 0, v25, vcc
	v_lshlrev_b64 v[26:27], 2, v[26:27]
	v_add_co_u32_e32 v26, vcc, v22, v26
	v_addc_co_u32_e32 v27, vcc, v23, v27, vcc
	v_cmp_lt_i32_e32 vcc, v18, v20
	v_cndmask_b32_e32 v19, v27, v19, vcc
	v_cndmask_b32_e32 v18, v26, v15, vcc
	global_load_dword v15, v[18:19], off
.LBB25_37:
	s_or_b64 exec, exec, s[0:1]
	v_lshlrev_b32_e32 v18, 2, v16
	s_waitcnt vmcnt(0)
	ds_write2st64_b32 v18, v0, v1 offset0:76 offset1:80
	ds_write2st64_b32 v18, v2, v3 offset0:84 offset1:88
	;; [unrolled: 1-line block ×8, first 2 shown]
	v_lshlrev_b32_e32 v0, 4, v16
	v_min_i32_e32 v1, v17, v0
	v_lshlrev_b32_e32 v0, 2, v20
	v_add_u32_e32 v5, 0x4800, v0
	v_sub_u32_e32 v0, v1, v21
	v_max_i32_e32 v0, 0, v0
	v_min_i32_e32 v2, v20, v1
	v_cmp_lt_i32_e32 vcc, v0, v2
	s_waitcnt lgkmcnt(0)
	s_barrier
	s_and_saveexec_b64 s[0:1], vcc
	s_cbranch_execz .LBB25_41
; %bb.38:
	v_lshl_add_u32 v3, v1, 2, v5
	v_add_u32_e32 v3, 0x400, v3
	s_mov_b64 s[2:3], 0
.LBB25_39:                              ; =>This Inner Loop Header: Depth=1
	v_add_u32_e32 v4, v2, v0
	v_ashrrev_i32_e32 v4, 1, v4
	v_not_b32_e32 v7, v4
	v_lshlrev_b32_e32 v6, 2, v4
	v_lshl_add_u32 v7, v7, 2, v3
	ds_read_b32 v6, v6 offset:19456
	ds_read_b32 v7, v7
	v_add_u32_e32 v8, 1, v4
	s_waitcnt lgkmcnt(0)
	v_cmp_lt_i32_e32 vcc, v7, v6
	v_cndmask_b32_e32 v2, v2, v4, vcc
	v_cndmask_b32_e32 v0, v8, v0, vcc
	v_cmp_ge_i32_e32 vcc, v0, v2
	s_or_b64 s[2:3], vcc, s[2:3]
	s_andn2_b64 exec, exec, s[2:3]
	s_cbranch_execnz .LBB25_39
; %bb.40:
	s_or_b64 exec, exec, s[2:3]
.LBB25_41:
	s_or_b64 exec, exec, s[0:1]
	v_sub_u32_e32 v6, v1, v0
	v_add_u32_e32 v3, 0x4800, v18
	v_add_u32_e32 v26, 0x4c00, v18
	v_cmp_lt_i32_e32 vcc, v6, v21
	v_mov_b32_e32 v4, 0
	s_and_saveexec_b64 s[2:3], vcc
	s_cbranch_execz .LBB25_71
; %bb.42:
	v_lshl_add_u32 v7, v6, 2, v5
	ds_read_b32 v4, v7 offset:1024
	v_cmp_lt_i32_e32 vcc, 0, v0
	v_mov_b32_e32 v2, 0
	v_mov_b32_e32 v8, v0
	s_and_saveexec_b64 s[0:1], vcc
	s_cbranch_execnz .LBB25_47
; %bb.43:
	s_or_b64 exec, exec, s[0:1]
	v_cmp_lt_i32_e32 vcc, v2, v8
	s_and_saveexec_b64 s[0:1], vcc
	s_cbranch_execnz .LBB25_48
.LBB25_44:
	s_or_b64 exec, exec, s[0:1]
	v_cmp_lt_i32_e32 vcc, v2, v8
	s_and_saveexec_b64 s[0:1], vcc
	s_cbranch_execnz .LBB25_49
.LBB25_45:
	s_or_b64 exec, exec, s[0:1]
	v_cmp_lt_i32_e32 vcc, v2, v8
	s_and_saveexec_b64 s[0:1], vcc
	s_cbranch_execnz .LBB25_50
.LBB25_46:
	s_or_b64 exec, exec, s[0:1]
	v_cmp_lt_i32_e32 vcc, v2, v8
	s_and_saveexec_b64 s[0:1], vcc
	s_cbranch_execnz .LBB25_51
	s_branch .LBB25_54
.LBB25_47:
	s_movk_i32 s4, 0x1ff
	v_mul_lo_u32 v2, v0, s4
	v_ashrrev_i32_e32 v8, 9, v2
	v_lshlrev_b32_e32 v2, 2, v8
	ds_read_b32 v2, v2 offset:19456
	v_add_u32_e32 v9, 1, v8
	s_waitcnt lgkmcnt(0)
	v_cmp_lt_i32_e32 vcc, v2, v4
	v_cndmask_b32_e32 v2, 0, v9, vcc
	v_cndmask_b32_e32 v8, v8, v0, vcc
	s_or_b64 exec, exec, s[0:1]
	v_cmp_lt_i32_e32 vcc, v2, v8
	s_and_saveexec_b64 s[0:1], vcc
	s_cbranch_execz .LBB25_44
.LBB25_48:
	v_sub_u32_e32 v9, v2, v8
	v_lshl_add_u32 v9, v8, 7, v9
	v_ashrrev_i32_e32 v9, 7, v9
	v_lshlrev_b32_e32 v10, 2, v9
	ds_read_b32 v10, v10 offset:19456
	v_add_u32_e32 v11, 1, v9
	s_waitcnt lgkmcnt(0)
	v_cmp_lt_i32_e32 vcc, v10, v4
	v_cndmask_b32_e32 v2, v2, v11, vcc
	v_cndmask_b32_e32 v8, v9, v8, vcc
	s_or_b64 exec, exec, s[0:1]
	v_cmp_lt_i32_e32 vcc, v2, v8
	s_and_saveexec_b64 s[0:1], vcc
	s_cbranch_execz .LBB25_45
.LBB25_49:
	v_sub_u32_e32 v9, v2, v8
	v_lshl_add_u32 v9, v8, 5, v9
	v_ashrrev_i32_e32 v9, 5, v9
	v_lshlrev_b32_e32 v10, 2, v9
	ds_read_b32 v10, v10 offset:19456
	v_add_u32_e32 v11, 1, v9
	s_waitcnt lgkmcnt(0)
	v_cmp_lt_i32_e32 vcc, v10, v4
	v_cndmask_b32_e32 v2, v2, v11, vcc
	v_cndmask_b32_e32 v8, v9, v8, vcc
	s_or_b64 exec, exec, s[0:1]
	v_cmp_lt_i32_e32 vcc, v2, v8
	s_and_saveexec_b64 s[0:1], vcc
	s_cbranch_execz .LBB25_46
.LBB25_50:
	v_sub_u32_e32 v9, v2, v8
	v_lshl_add_u32 v9, v8, 4, v9
	v_ashrrev_i32_e32 v9, 4, v9
	v_lshlrev_b32_e32 v10, 2, v9
	ds_read_b32 v10, v10 offset:19456
	v_add_u32_e32 v11, 1, v9
	s_waitcnt lgkmcnt(0)
	v_cmp_lt_i32_e32 vcc, v10, v4
	v_cndmask_b32_e32 v2, v2, v11, vcc
	v_cndmask_b32_e32 v8, v9, v8, vcc
	s_or_b64 exec, exec, s[0:1]
	v_cmp_lt_i32_e32 vcc, v2, v8
	s_and_saveexec_b64 s[0:1], vcc
	s_cbranch_execz .LBB25_54
.LBB25_51:
	s_mov_b64 s[4:5], 0
.LBB25_52:                              ; =>This Inner Loop Header: Depth=1
	v_sub_u32_e32 v9, v2, v8
	v_lshl_add_u32 v9, v8, 1, v9
	v_ashrrev_i32_e32 v9, 1, v9
	v_lshlrev_b32_e32 v10, 2, v9
	ds_read_b32 v10, v10 offset:19456
	v_add_u32_e32 v11, 1, v9
	s_waitcnt lgkmcnt(0)
	v_cmp_lt_i32_e32 vcc, v10, v4
	v_cndmask_b32_e32 v2, v2, v11, vcc
	v_cndmask_b32_e32 v8, v9, v8, vcc
	v_cmp_ge_i32_e32 vcc, v2, v8
	s_or_b64 s[4:5], vcc, s[4:5]
	s_andn2_b64 exec, exec, s[4:5]
	s_cbranch_execnz .LBB25_52
; %bb.53:
	s_or_b64 exec, exec, s[4:5]
.LBB25_54:
	s_or_b64 exec, exec, s[0:1]
	v_add_u32_e32 v7, 0x400, v7
	v_cmp_lt_i32_e32 vcc, 0, v6
	v_mov_b32_e32 v8, 0
	v_mov_b32_e32 v9, v6
	s_and_saveexec_b64 s[0:1], vcc
	s_cbranch_execnz .LBB25_59
; %bb.55:
	s_or_b64 exec, exec, s[0:1]
	v_cmp_lt_i32_e32 vcc, v8, v9
	s_and_saveexec_b64 s[0:1], vcc
	s_cbranch_execnz .LBB25_60
.LBB25_56:
	s_or_b64 exec, exec, s[0:1]
	v_cmp_lt_i32_e32 vcc, v8, v9
	s_and_saveexec_b64 s[0:1], vcc
	s_cbranch_execnz .LBB25_61
.LBB25_57:
	s_or_b64 exec, exec, s[0:1]
	v_cmp_lt_i32_e32 vcc, v8, v9
	s_and_saveexec_b64 s[0:1], vcc
	s_cbranch_execnz .LBB25_62
.LBB25_58:
	s_or_b64 exec, exec, s[0:1]
	v_cmp_lt_i32_e32 vcc, v8, v9
	s_and_saveexec_b64 s[0:1], vcc
	s_cbranch_execnz .LBB25_63
	s_branch .LBB25_66
.LBB25_59:
	s_movk_i32 s4, 0x1ff
	v_mul_lo_u32 v8, v6, s4
	v_ashrrev_i32_e32 v9, 9, v8
	v_lshl_add_u32 v8, v9, 2, v5
	ds_read_b32 v8, v8 offset:1024
	v_add_u32_e32 v10, 1, v9
	s_waitcnt lgkmcnt(0)
	v_cmp_lt_i32_e32 vcc, v8, v4
	v_cndmask_b32_e32 v8, 0, v10, vcc
	v_cndmask_b32_e32 v9, v9, v6, vcc
	s_or_b64 exec, exec, s[0:1]
	v_cmp_lt_i32_e32 vcc, v8, v9
	s_and_saveexec_b64 s[0:1], vcc
	s_cbranch_execz .LBB25_56
.LBB25_60:
	v_sub_u32_e32 v10, v8, v9
	v_lshl_add_u32 v10, v9, 7, v10
	v_ashrrev_i32_e32 v10, 7, v10
	v_lshl_add_u32 v11, v10, 2, v5
	ds_read_b32 v11, v11 offset:1024
	v_add_u32_e32 v12, 1, v10
	s_waitcnt lgkmcnt(0)
	v_cmp_lt_i32_e32 vcc, v11, v4
	v_cndmask_b32_e32 v8, v8, v12, vcc
	v_cndmask_b32_e32 v9, v10, v9, vcc
	s_or_b64 exec, exec, s[0:1]
	v_cmp_lt_i32_e32 vcc, v8, v9
	s_and_saveexec_b64 s[0:1], vcc
	s_cbranch_execz .LBB25_57
.LBB25_61:
	v_sub_u32_e32 v10, v8, v9
	v_lshl_add_u32 v10, v9, 5, v10
	v_ashrrev_i32_e32 v10, 5, v10
	v_lshl_add_u32 v11, v10, 2, v5
	ds_read_b32 v11, v11 offset:1024
	v_add_u32_e32 v12, 1, v10
	s_waitcnt lgkmcnt(0)
	v_cmp_lt_i32_e32 vcc, v11, v4
	v_cndmask_b32_e32 v8, v8, v12, vcc
	v_cndmask_b32_e32 v9, v10, v9, vcc
	s_or_b64 exec, exec, s[0:1]
	v_cmp_lt_i32_e32 vcc, v8, v9
	s_and_saveexec_b64 s[0:1], vcc
	s_cbranch_execz .LBB25_58
.LBB25_62:
	v_sub_u32_e32 v10, v8, v9
	v_lshl_add_u32 v10, v9, 4, v10
	v_ashrrev_i32_e32 v10, 4, v10
	v_lshl_add_u32 v11, v10, 2, v5
	ds_read_b32 v11, v11 offset:1024
	v_add_u32_e32 v12, 1, v10
	s_waitcnt lgkmcnt(0)
	v_cmp_lt_i32_e32 vcc, v11, v4
	v_cndmask_b32_e32 v8, v8, v12, vcc
	v_cndmask_b32_e32 v9, v10, v9, vcc
	s_or_b64 exec, exec, s[0:1]
	v_cmp_lt_i32_e32 vcc, v8, v9
	s_and_saveexec_b64 s[0:1], vcc
	s_cbranch_execz .LBB25_66
.LBB25_63:
	v_add_u32_e32 v5, 0x400, v5
	s_mov_b64 s[4:5], 0
.LBB25_64:                              ; =>This Inner Loop Header: Depth=1
	v_sub_u32_e32 v10, v8, v9
	v_lshl_add_u32 v10, v9, 1, v10
	v_ashrrev_i32_e32 v10, 1, v10
	v_lshl_add_u32 v11, v10, 2, v5
	ds_read_b32 v11, v11
	v_add_u32_e32 v12, 1, v10
	s_waitcnt lgkmcnt(0)
	v_cmp_lt_i32_e32 vcc, v11, v4
	v_cndmask_b32_e32 v8, v8, v12, vcc
	v_cndmask_b32_e32 v9, v10, v9, vcc
	v_cmp_ge_i32_e32 vcc, v8, v9
	s_or_b64 s[4:5], vcc, s[4:5]
	s_andn2_b64 exec, exec, s[4:5]
	s_cbranch_execnz .LBB25_64
; %bb.65:
	s_or_b64 exec, exec, s[4:5]
.LBB25_66:
	s_or_b64 exec, exec, s[0:1]
	v_sub_u32_e32 v0, v0, v2
	v_sub_u32_e32 v9, v6, v8
	v_add_u32_e32 v5, v9, v0
	v_ashrrev_i32_e32 v0, 1, v5
	v_max_i32_e32 v0, v0, v9
	v_add3_u32 v8, v8, v0, 1
	v_min_i32_e32 v8, v8, v21
	v_sub_u32_e32 v8, v8, v6
	v_cmp_lt_i32_e32 vcc, 0, v8
	v_mov_b32_e32 v6, 0
	s_and_saveexec_b64 s[0:1], vcc
	s_cbranch_execz .LBB25_70
; %bb.67:
	s_mov_b64 s[4:5], 0
	v_mov_b32_e32 v6, 0
.LBB25_68:                              ; =>This Inner Loop Header: Depth=1
	v_add_u32_e32 v10, v6, v8
	v_ashrrev_i32_e32 v10, 1, v10
	v_lshl_add_u32 v11, v10, 2, v7
	ds_read_b32 v11, v11
	v_add_u32_e32 v12, 1, v10
	s_waitcnt lgkmcnt(0)
	v_cmp_gt_i32_e32 vcc, v11, v4
	v_cndmask_b32_e32 v6, v12, v6, vcc
	v_cndmask_b32_e32 v8, v8, v10, vcc
	v_cmp_ge_i32_e32 vcc, v6, v8
	s_or_b64 s[4:5], vcc, s[4:5]
	s_andn2_b64 exec, exec, s[4:5]
	s_cbranch_execnz .LBB25_68
; %bb.69:
	s_or_b64 exec, exec, s[4:5]
.LBB25_70:
	s_or_b64 exec, exec, s[0:1]
	s_waitcnt lgkmcnt(0)
	v_add_u32_e32 v4, v6, v9
	v_min_i32_e32 v6, v4, v0
	v_sub_u32_e32 v5, v5, v6
	v_add_u32_e32 v6, 1, v6
	v_cmp_eq_u32_e32 vcc, v5, v6
	v_cmp_lt_i32_e64 s[0:1], v0, v4
	s_and_b64 s[0:1], s[0:1], vcc
	v_cndmask_b32_e64 v4, 0, 1, s[0:1]
	v_add_u32_e32 v0, v5, v2
.LBB25_71:
	s_or_b64 exec, exec, s[2:3]
	v_add_u32_e32 v1, v4, v1
	v_sub_u32_e32 v7, v1, v0
	v_lshlrev_b32_e32 v2, 16, v20
	v_or_b32_e32 v2, v2, v21
	v_lshl_or_b32 v4, v0, 16, v7
	v_cmp_eq_u32_e64 s[0:1], 0, v16
	v_cndmask_b32_e64 v2, v4, v2, s[0:1]
	v_add_u32_e32 v4, -1, v16
	v_mov_b32_e32 v5, 0xff
	v_cndmask_b32_e64 v4, v4, v5, s[0:1]
	v_lshlrev_b32_e32 v4, 2, v4
	ds_write_b32 v4, v2 offset:18432
	v_add_u32_e32 v2, v7, v20
	s_waitcnt lgkmcnt(0)
	s_barrier
	v_lshlrev_b32_e32 v5, 2, v0
	v_lshlrev_b32_e32 v4, 2, v2
	ds_read_b32 v3, v3
	ds_read_b32 v17, v5 offset:19456
	ds_read_b32 v6, v4 offset:19456
	s_waitcnt lgkmcnt(2)
	v_cmp_le_i32_sdwa s[4:5], v3, v7 src0_sel:WORD_0 src1_sel:DWORD
	v_cmp_le_i32_sdwa s[6:7], sext(v3), v0 src0_sel:WORD_1 src1_sel:DWORD
	s_waitcnt lgkmcnt(0)
	v_cmp_lt_i32_e32 vcc, v6, v17
	v_cndmask_b32_e64 v7, 0, 1, vcc
	v_cndmask_b32_e64 v8, 0, 1, s[6:7]
	s_or_b64 vcc, s[6:7], s[4:5]
	v_cndmask_b32_e32 v7, v7, v8, vcc
	v_and_b32_e32 v7, 1, v7
	v_cmp_eq_u32_e64 s[2:3], 1, v7
	s_xor_b64 s[16:17], s[2:3], -1
	v_mov_b32_e32 v27, v17
	s_and_saveexec_b64 s[2:3], s[16:17]
	s_cbranch_execz .LBB25_73
; %bb.72:
	ds_read_b32 v27, v5 offset:19460
	v_add_u32_e32 v0, 1, v0
.LBB25_73:
	s_or_b64 exec, exec, s[2:3]
	s_xor_b64 s[6:7], s[6:7], -1
	v_cmp_lt_i32_e64 s[2:3], v17, v6
	v_cndmask_b32_e64 v5, 0, 1, s[2:3]
	s_and_b64 s[2:3], s[4:5], s[6:7]
	v_cndmask_b32_e64 v7, 0, 1, s[2:3]
	v_cndmask_b32_e32 v5, v5, v7, vcc
	v_and_b32_e32 v5, 1, v5
	v_cmp_eq_u32_e32 vcc, 1, v5
	s_xor_b64 s[4:5], vcc, -1
	s_and_saveexec_b64 s[2:3], s[4:5]
	s_cbranch_execz .LBB25_75
; %bb.74:
	ds_read_b32 v6, v4 offset:19460
	v_add_u32_e32 v2, 1, v2
.LBB25_75:
	s_or_b64 exec, exec, s[2:3]
	v_add_u32_sdwa v7, v3, v20 dst_sel:DWORD dst_unused:UNUSED_PAD src0_sel:WORD_0 src1_sel:DWORD
	v_cmp_ge_i32_e64 s[2:3], v2, v7
	v_cmp_ge_i32_sdwa s[6:7], v0, sext(v3) src0_sel:DWORD src1_sel:WORD_1
	s_waitcnt lgkmcnt(0)
	v_cmp_lt_i32_e64 s[4:5], v6, v27
	v_cndmask_b32_e64 v4, 0, 1, s[6:7]
	v_cndmask_b32_e64 v5, 0, 1, s[4:5]
	s_or_b64 s[4:5], s[6:7], s[2:3]
	v_cndmask_b32_e64 v4, v5, v4, s[4:5]
	v_and_b32_e32 v4, 1, v4
	v_cmp_eq_u32_e64 s[4:5], 1, v4
	s_xor_b64 s[16:17], s[4:5], -1
	v_mov_b32_e32 v28, v27
	v_mov_b32_e32 v4, v0
	s_and_saveexec_b64 s[4:5], s[16:17]
	s_cbranch_execz .LBB25_77
; %bb.76:
	v_lshlrev_b32_e32 v4, 2, v0
	ds_read_b32 v28, v4 offset:19460
	v_add_u32_e32 v4, 1, v0
.LBB25_77:
	s_or_b64 exec, exec, s[4:5]
	v_cmp_lt_i32_e64 s[4:5], v27, v6
	s_or_b64 s[2:3], s[2:3], s[4:5]
	s_xor_b64 s[4:5], s[6:7], -1
	s_and_b64 s[6:7], s[4:5], s[2:3]
	s_xor_b64 s[4:5], s[6:7], -1
	v_mov_b32_e32 v5, v2
	s_and_saveexec_b64 s[2:3], s[4:5]
	s_cbranch_execz .LBB25_79
; %bb.78:
	v_lshlrev_b32_e32 v5, 2, v2
	ds_read_b32 v6, v5 offset:19460
	v_add_u32_e32 v5, 1, v2
.LBB25_79:
	s_or_b64 exec, exec, s[2:3]
	v_cmp_ge_i32_e64 s[2:3], v5, v7
	v_cmp_ge_i32_sdwa s[16:17], v4, sext(v3) src0_sel:DWORD src1_sel:WORD_1
	s_waitcnt lgkmcnt(0)
	v_cmp_lt_i32_e64 s[4:5], v6, v28
	v_cndmask_b32_e64 v8, 0, 1, s[16:17]
	v_cndmask_b32_e64 v9, 0, 1, s[4:5]
	s_or_b64 s[4:5], s[16:17], s[2:3]
	v_cndmask_b32_e64 v8, v9, v8, s[4:5]
	v_and_b32_e32 v8, 1, v8
	v_cmp_eq_u32_e64 s[4:5], 1, v8
	s_xor_b64 s[18:19], s[4:5], -1
	v_mov_b32_e32 v29, v28
	v_mov_b32_e32 v8, v4
	s_and_saveexec_b64 s[4:5], s[18:19]
	s_cbranch_execz .LBB25_81
; %bb.80:
	v_lshlrev_b32_e32 v8, 2, v4
	ds_read_b32 v29, v8 offset:19460
	v_add_u32_e32 v8, 1, v4
.LBB25_81:
	s_or_b64 exec, exec, s[4:5]
	v_cmp_lt_i32_e64 s[4:5], v28, v6
	s_or_b64 s[2:3], s[2:3], s[4:5]
	s_xor_b64 s[4:5], s[16:17], -1
	s_and_b64 s[22:23], s[4:5], s[2:3]
	s_xor_b64 s[4:5], s[22:23], -1
	v_mov_b32_e32 v9, v5
	s_and_saveexec_b64 s[2:3], s[4:5]
	s_cbranch_execz .LBB25_83
; %bb.82:
	v_lshlrev_b32_e32 v6, 2, v5
	ds_read_b32 v6, v6 offset:19460
	v_add_u32_e32 v9, 1, v5
.LBB25_83:
	s_or_b64 exec, exec, s[2:3]
	v_cmp_ge_i32_e64 s[2:3], v9, v7
	v_cmp_ge_i32_sdwa s[16:17], v8, sext(v3) src0_sel:DWORD src1_sel:WORD_1
	s_waitcnt lgkmcnt(0)
	v_cmp_lt_i32_e64 s[4:5], v6, v29
	v_cndmask_b32_e64 v10, 0, 1, s[16:17]
	v_cndmask_b32_e64 v11, 0, 1, s[4:5]
	s_or_b64 s[4:5], s[16:17], s[2:3]
	v_cndmask_b32_e64 v10, v11, v10, s[4:5]
	v_and_b32_e32 v10, 1, v10
	v_cmp_eq_u32_e64 s[4:5], 1, v10
	s_xor_b64 s[18:19], s[4:5], -1
	v_mov_b32_e32 v30, v29
	v_mov_b32_e32 v10, v8
	s_and_saveexec_b64 s[4:5], s[18:19]
	s_cbranch_execz .LBB25_85
; %bb.84:
	v_lshlrev_b32_e32 v10, 2, v8
	ds_read_b32 v30, v10 offset:19460
	v_add_u32_e32 v10, 1, v8
.LBB25_85:
	s_or_b64 exec, exec, s[4:5]
	v_cmp_lt_i32_e64 s[4:5], v29, v6
	s_or_b64 s[2:3], s[2:3], s[4:5]
	s_xor_b64 s[4:5], s[16:17], -1
	s_and_b64 s[20:21], s[4:5], s[2:3]
	s_xor_b64 s[4:5], s[20:21], -1
	v_mov_b32_e32 v11, v9
	s_and_saveexec_b64 s[2:3], s[4:5]
	s_cbranch_execz .LBB25_87
; %bb.86:
	v_lshlrev_b32_e32 v6, 2, v9
	ds_read_b32 v6, v6 offset:19460
	v_add_u32_e32 v11, 1, v9
.LBB25_87:
	s_or_b64 exec, exec, s[2:3]
	v_cmp_ge_i32_e64 s[2:3], v11, v7
	v_cmp_ge_i32_sdwa s[16:17], v10, sext(v3) src0_sel:DWORD src1_sel:WORD_1
	s_waitcnt lgkmcnt(0)
	v_cmp_lt_i32_e64 s[4:5], v6, v30
	v_cndmask_b32_e64 v12, 0, 1, s[16:17]
	v_cndmask_b32_e64 v13, 0, 1, s[4:5]
	s_or_b64 s[4:5], s[16:17], s[2:3]
	v_cndmask_b32_e64 v12, v13, v12, s[4:5]
	v_and_b32_e32 v12, 1, v12
	v_cmp_eq_u32_e64 s[4:5], 1, v12
	s_xor_b64 s[18:19], s[4:5], -1
	v_mov_b32_e32 v31, v30
	v_mov_b32_e32 v12, v10
	s_and_saveexec_b64 s[4:5], s[18:19]
	s_cbranch_execz .LBB25_89
; %bb.88:
	v_lshlrev_b32_e32 v12, 2, v10
	ds_read_b32 v31, v12 offset:19460
	v_add_u32_e32 v12, 1, v10
.LBB25_89:
	s_or_b64 exec, exec, s[4:5]
	v_cmp_lt_i32_e64 s[4:5], v30, v6
	s_or_b64 s[2:3], s[2:3], s[4:5]
	s_xor_b64 s[4:5], s[16:17], -1
	s_and_b64 s[18:19], s[4:5], s[2:3]
	s_xor_b64 s[4:5], s[18:19], -1
	v_mov_b32_e32 v13, v11
	s_and_saveexec_b64 s[2:3], s[4:5]
	s_cbranch_execz .LBB25_91
; %bb.90:
	v_lshlrev_b32_e32 v6, 2, v11
	ds_read_b32 v6, v6 offset:19460
	v_add_u32_e32 v13, 1, v11
.LBB25_91:
	s_or_b64 exec, exec, s[2:3]
	v_cmp_ge_i32_e64 s[2:3], v13, v7
	v_cmp_ge_i32_sdwa s[16:17], v12, sext(v3) src0_sel:DWORD src1_sel:WORD_1
	s_waitcnt lgkmcnt(0)
	v_cmp_lt_i32_e64 s[4:5], v6, v31
	v_cndmask_b32_e64 v14, 0, 1, s[16:17]
	v_cndmask_b32_e64 v15, 0, 1, s[4:5]
	s_or_b64 s[4:5], s[16:17], s[2:3]
	v_cndmask_b32_e64 v14, v15, v14, s[4:5]
	v_and_b32_e32 v14, 1, v14
	v_cmp_eq_u32_e64 s[4:5], 1, v14
	s_xor_b64 s[24:25], s[4:5], -1
	v_mov_b32_e32 v32, v31
	v_mov_b32_e32 v14, v12
	s_and_saveexec_b64 s[4:5], s[24:25]
	s_cbranch_execz .LBB25_93
; %bb.92:
	v_lshlrev_b32_e32 v14, 2, v12
	ds_read_b32 v32, v14 offset:19460
	v_add_u32_e32 v14, 1, v12
.LBB25_93:
	s_or_b64 exec, exec, s[4:5]
	v_cmp_lt_i32_e64 s[4:5], v31, v6
	s_or_b64 s[2:3], s[2:3], s[4:5]
	s_xor_b64 s[4:5], s[16:17], -1
	s_and_b64 s[16:17], s[4:5], s[2:3]
	s_xor_b64 s[4:5], s[16:17], -1
	v_mov_b32_e32 v15, v13
	s_and_saveexec_b64 s[2:3], s[4:5]
	s_cbranch_execz .LBB25_95
; %bb.94:
	v_lshlrev_b32_e32 v6, 2, v13
	ds_read_b32 v6, v6 offset:19460
	v_add_u32_e32 v15, 1, v13
.LBB25_95:
	s_or_b64 exec, exec, s[2:3]
	v_cmp_ge_i32_e64 s[2:3], v15, v7
	v_cmp_ge_i32_sdwa s[24:25], v14, sext(v3) src0_sel:DWORD src1_sel:WORD_1
	s_waitcnt lgkmcnt(0)
	v_cmp_lt_i32_e64 s[4:5], v6, v32
	v_cndmask_b32_e64 v18, 0, 1, s[24:25]
	v_cndmask_b32_e64 v19, 0, 1, s[4:5]
	s_or_b64 s[4:5], s[24:25], s[2:3]
	v_cndmask_b32_e64 v18, v19, v18, s[4:5]
	v_and_b32_e32 v18, 1, v18
	v_cmp_eq_u32_e64 s[4:5], 1, v18
	s_xor_b64 s[26:27], s[4:5], -1
	v_mov_b32_e32 v33, v32
	v_mov_b32_e32 v18, v14
	s_and_saveexec_b64 s[4:5], s[26:27]
	s_cbranch_execz .LBB25_97
; %bb.96:
	v_lshlrev_b32_e32 v18, 2, v14
	ds_read_b32 v33, v18 offset:19460
	v_add_u32_e32 v18, 1, v14
.LBB25_97:
	s_or_b64 exec, exec, s[4:5]
	v_cmp_lt_i32_e64 s[4:5], v32, v6
	s_or_b64 s[2:3], s[2:3], s[4:5]
	s_xor_b64 s[4:5], s[24:25], -1
	s_and_b64 s[24:25], s[4:5], s[2:3]
	s_xor_b64 s[4:5], s[24:25], -1
	v_mov_b32_e32 v19, v15
	s_and_saveexec_b64 s[2:3], s[4:5]
	s_cbranch_execz .LBB25_99
; %bb.98:
	v_lshlrev_b32_e32 v6, 2, v15
	ds_read_b32 v6, v6 offset:19460
	v_add_u32_e32 v19, 1, v15
.LBB25_99:
	s_or_b64 exec, exec, s[2:3]
	v_cmp_ge_i32_e64 s[2:3], v19, v7
	v_cmp_ge_i32_sdwa s[26:27], v18, sext(v3) src0_sel:DWORD src1_sel:WORD_1
	s_waitcnt lgkmcnt(0)
	v_cmp_lt_i32_e64 s[4:5], v6, v33
	v_cndmask_b32_e64 v34, 0, 1, s[26:27]
	v_cndmask_b32_e64 v35, 0, 1, s[4:5]
	s_or_b64 s[4:5], s[26:27], s[2:3]
	v_cndmask_b32_e64 v34, v35, v34, s[4:5]
	v_and_b32_e32 v34, 1, v34
	v_cmp_eq_u32_e64 s[4:5], 1, v34
	s_xor_b64 s[28:29], s[4:5], -1
	v_mov_b32_e32 v34, v33
	v_mov_b32_e32 v42, v18
	s_and_saveexec_b64 s[4:5], s[28:29]
	s_cbranch_execz .LBB25_101
; %bb.100:
	v_lshlrev_b32_e32 v34, 2, v18
	ds_read_b32 v34, v34 offset:19460
	v_add_u32_e32 v42, 1, v18
.LBB25_101:
	s_or_b64 exec, exec, s[4:5]
	v_cmp_lt_i32_e64 s[4:5], v33, v6
	s_or_b64 s[2:3], s[2:3], s[4:5]
	s_xor_b64 s[4:5], s[26:27], -1
	s_and_b64 s[26:27], s[4:5], s[2:3]
	s_xor_b64 s[4:5], s[26:27], -1
	v_mov_b32_e32 v43, v19
	s_and_saveexec_b64 s[2:3], s[4:5]
	s_cbranch_execz .LBB25_103
; %bb.102:
	v_lshlrev_b32_e32 v6, 2, v19
	ds_read_b32 v6, v6 offset:19460
	v_add_u32_e32 v43, 1, v19
.LBB25_103:
	s_or_b64 exec, exec, s[2:3]
	v_cmp_ge_i32_e64 s[2:3], v43, v7
	v_cmp_ge_i32_sdwa s[28:29], v42, sext(v3) src0_sel:DWORD src1_sel:WORD_1
	s_waitcnt lgkmcnt(0)
	v_cmp_lt_i32_e64 s[4:5], v6, v34
	v_cndmask_b32_e64 v35, 0, 1, s[28:29]
	v_cndmask_b32_e64 v36, 0, 1, s[4:5]
	s_or_b64 s[4:5], s[28:29], s[2:3]
	v_cndmask_b32_e64 v35, v36, v35, s[4:5]
	v_and_b32_e32 v35, 1, v35
	v_cmp_eq_u32_e64 s[4:5], 1, v35
	s_xor_b64 s[30:31], s[4:5], -1
	v_mov_b32_e32 v35, v34
	v_mov_b32_e32 v44, v42
	s_and_saveexec_b64 s[4:5], s[30:31]
	s_cbranch_execz .LBB25_105
; %bb.104:
	v_lshlrev_b32_e32 v35, 2, v42
	ds_read_b32 v35, v35 offset:19460
	v_add_u32_e32 v44, 1, v42
.LBB25_105:
	s_or_b64 exec, exec, s[4:5]
	v_cmp_lt_i32_e64 s[4:5], v34, v6
	s_or_b64 s[2:3], s[2:3], s[4:5]
	s_xor_b64 s[4:5], s[28:29], -1
	s_and_b64 s[28:29], s[4:5], s[2:3]
	s_xor_b64 s[4:5], s[28:29], -1
	v_mov_b32_e32 v45, v43
	s_and_saveexec_b64 s[2:3], s[4:5]
	s_cbranch_execz .LBB25_107
; %bb.106:
	v_lshlrev_b32_e32 v6, 2, v43
	ds_read_b32 v6, v6 offset:19460
	v_add_u32_e32 v45, 1, v43
.LBB25_107:
	s_or_b64 exec, exec, s[2:3]
	v_cmp_ge_i32_e64 s[2:3], v45, v7
	v_cmp_ge_i32_sdwa s[30:31], v44, sext(v3) src0_sel:DWORD src1_sel:WORD_1
	s_waitcnt lgkmcnt(0)
	v_cmp_lt_i32_e64 s[4:5], v6, v35
	v_cndmask_b32_e64 v36, 0, 1, s[30:31]
	v_cndmask_b32_e64 v37, 0, 1, s[4:5]
	s_or_b64 s[4:5], s[30:31], s[2:3]
	v_cndmask_b32_e64 v36, v37, v36, s[4:5]
	v_and_b32_e32 v36, 1, v36
	v_cmp_eq_u32_e64 s[4:5], 1, v36
	s_xor_b64 s[34:35], s[4:5], -1
	v_mov_b32_e32 v36, v35
	v_mov_b32_e32 v46, v44
	s_and_saveexec_b64 s[4:5], s[34:35]
	s_cbranch_execz .LBB25_109
; %bb.108:
	v_lshlrev_b32_e32 v36, 2, v44
	ds_read_b32 v36, v36 offset:19460
	v_add_u32_e32 v46, 1, v44
.LBB25_109:
	s_or_b64 exec, exec, s[4:5]
	v_cmp_lt_i32_e64 s[4:5], v35, v6
	s_or_b64 s[2:3], s[2:3], s[4:5]
	s_xor_b64 s[4:5], s[30:31], -1
	s_and_b64 s[30:31], s[4:5], s[2:3]
	s_xor_b64 s[4:5], s[30:31], -1
	v_mov_b32_e32 v47, v45
	s_and_saveexec_b64 s[2:3], s[4:5]
	s_cbranch_execz .LBB25_111
; %bb.110:
	v_lshlrev_b32_e32 v6, 2, v45
	ds_read_b32 v6, v6 offset:19460
	v_add_u32_e32 v47, 1, v45
.LBB25_111:
	s_or_b64 exec, exec, s[2:3]
	v_cmp_ge_i32_e64 s[2:3], v47, v7
	v_cmp_ge_i32_sdwa s[34:35], v46, sext(v3) src0_sel:DWORD src1_sel:WORD_1
	s_waitcnt lgkmcnt(0)
	v_cmp_lt_i32_e64 s[4:5], v6, v36
	v_cndmask_b32_e64 v37, 0, 1, s[34:35]
	v_cndmask_b32_e64 v38, 0, 1, s[4:5]
	s_or_b64 s[4:5], s[34:35], s[2:3]
	v_cndmask_b32_e64 v37, v38, v37, s[4:5]
	v_and_b32_e32 v37, 1, v37
	v_cmp_eq_u32_e64 s[4:5], 1, v37
	s_xor_b64 s[36:37], s[4:5], -1
	v_mov_b32_e32 v37, v36
	v_mov_b32_e32 v48, v46
	s_and_saveexec_b64 s[4:5], s[36:37]
	s_cbranch_execz .LBB25_113
; %bb.112:
	v_lshlrev_b32_e32 v37, 2, v46
	ds_read_b32 v37, v37 offset:19460
	v_add_u32_e32 v48, 1, v46
.LBB25_113:
	s_or_b64 exec, exec, s[4:5]
	v_cmp_lt_i32_e64 s[4:5], v36, v6
	s_or_b64 s[2:3], s[2:3], s[4:5]
	s_xor_b64 s[4:5], s[34:35], -1
	s_and_b64 s[34:35], s[4:5], s[2:3]
	s_xor_b64 s[4:5], s[34:35], -1
	v_mov_b32_e32 v49, v47
	s_and_saveexec_b64 s[2:3], s[4:5]
	s_cbranch_execz .LBB25_115
; %bb.114:
	v_lshlrev_b32_e32 v6, 2, v47
	ds_read_b32 v6, v6 offset:19460
	v_add_u32_e32 v49, 1, v47
.LBB25_115:
	s_or_b64 exec, exec, s[2:3]
	v_cmp_ge_i32_e64 s[2:3], v49, v7
	v_cmp_ge_i32_sdwa s[36:37], v48, sext(v3) src0_sel:DWORD src1_sel:WORD_1
	s_waitcnt lgkmcnt(0)
	v_cmp_lt_i32_e64 s[4:5], v6, v37
	v_cndmask_b32_e64 v38, 0, 1, s[36:37]
	v_cndmask_b32_e64 v39, 0, 1, s[4:5]
	s_or_b64 s[4:5], s[36:37], s[2:3]
	v_cndmask_b32_e64 v38, v39, v38, s[4:5]
	v_and_b32_e32 v38, 1, v38
	v_cmp_eq_u32_e64 s[4:5], 1, v38
	s_xor_b64 s[38:39], s[4:5], -1
	v_mov_b32_e32 v38, v37
	v_mov_b32_e32 v50, v48
	s_and_saveexec_b64 s[4:5], s[38:39]
	s_cbranch_execz .LBB25_117
; %bb.116:
	v_lshlrev_b32_e32 v38, 2, v48
	ds_read_b32 v38, v38 offset:19460
	v_add_u32_e32 v50, 1, v48
.LBB25_117:
	s_or_b64 exec, exec, s[4:5]
	v_cmp_lt_i32_e64 s[4:5], v37, v6
	s_or_b64 s[2:3], s[2:3], s[4:5]
	s_xor_b64 s[4:5], s[36:37], -1
	s_and_b64 s[36:37], s[4:5], s[2:3]
	s_xor_b64 s[4:5], s[36:37], -1
	v_mov_b32_e32 v51, v49
	s_and_saveexec_b64 s[2:3], s[4:5]
	s_cbranch_execz .LBB25_119
; %bb.118:
	v_lshlrev_b32_e32 v6, 2, v49
	ds_read_b32 v6, v6 offset:19460
	v_add_u32_e32 v51, 1, v49
.LBB25_119:
	s_or_b64 exec, exec, s[2:3]
	v_cmp_ge_i32_e64 s[2:3], v51, v7
	v_cmp_ge_i32_sdwa s[38:39], v50, sext(v3) src0_sel:DWORD src1_sel:WORD_1
	s_waitcnt lgkmcnt(0)
	v_cmp_lt_i32_e64 s[4:5], v6, v38
	v_cndmask_b32_e64 v39, 0, 1, s[38:39]
	v_cndmask_b32_e64 v40, 0, 1, s[4:5]
	s_or_b64 s[4:5], s[38:39], s[2:3]
	v_cndmask_b32_e64 v39, v40, v39, s[4:5]
	v_and_b32_e32 v39, 1, v39
	v_cmp_eq_u32_e64 s[4:5], 1, v39
	s_xor_b64 s[40:41], s[4:5], -1
	v_mov_b32_e32 v39, v38
	v_mov_b32_e32 v52, v50
	s_and_saveexec_b64 s[4:5], s[40:41]
	s_cbranch_execz .LBB25_121
; %bb.120:
	v_lshlrev_b32_e32 v39, 2, v50
	ds_read_b32 v39, v39 offset:19460
	v_add_u32_e32 v52, 1, v50
.LBB25_121:
	s_or_b64 exec, exec, s[4:5]
	v_cmp_lt_i32_e64 s[4:5], v38, v6
	s_or_b64 s[2:3], s[2:3], s[4:5]
	s_xor_b64 s[4:5], s[38:39], -1
	s_and_b64 s[38:39], s[4:5], s[2:3]
	s_xor_b64 s[4:5], s[38:39], -1
	v_mov_b32_e32 v53, v51
	s_and_saveexec_b64 s[2:3], s[4:5]
	s_cbranch_execz .LBB25_123
; %bb.122:
	v_lshlrev_b32_e32 v6, 2, v51
	ds_read_b32 v6, v6 offset:19460
	v_add_u32_e32 v53, 1, v51
.LBB25_123:
	s_or_b64 exec, exec, s[2:3]
	v_cmp_ge_i32_e64 s[2:3], v53, v7
	v_cmp_ge_i32_sdwa s[40:41], v52, sext(v3) src0_sel:DWORD src1_sel:WORD_1
	s_waitcnt lgkmcnt(0)
	v_cmp_lt_i32_e64 s[4:5], v6, v39
	v_cndmask_b32_e64 v40, 0, 1, s[40:41]
	v_cndmask_b32_e64 v41, 0, 1, s[4:5]
	s_or_b64 s[4:5], s[40:41], s[2:3]
	v_cndmask_b32_e64 v40, v41, v40, s[4:5]
	v_and_b32_e32 v40, 1, v40
	v_cmp_eq_u32_e64 s[4:5], 1, v40
	s_xor_b64 s[42:43], s[4:5], -1
	v_mov_b32_e32 v40, v39
	v_mov_b32_e32 v54, v52
	s_and_saveexec_b64 s[4:5], s[42:43]
	s_cbranch_execz .LBB25_125
; %bb.124:
	v_lshlrev_b32_e32 v40, 2, v52
	ds_read_b32 v40, v40 offset:19460
	v_add_u32_e32 v54, 1, v52
.LBB25_125:
	s_or_b64 exec, exec, s[4:5]
	v_cmp_lt_i32_e64 s[4:5], v39, v6
	s_or_b64 s[2:3], s[2:3], s[4:5]
	s_xor_b64 s[4:5], s[40:41], -1
	s_and_b64 s[40:41], s[4:5], s[2:3]
	s_xor_b64 s[4:5], s[40:41], -1
	v_mov_b32_e32 v55, v53
	s_and_saveexec_b64 s[2:3], s[4:5]
	s_cbranch_execz .LBB25_127
; %bb.126:
	v_lshlrev_b32_e32 v6, 2, v53
	ds_read_b32 v6, v6 offset:19460
	v_add_u32_e32 v55, 1, v53
.LBB25_127:
	s_or_b64 exec, exec, s[2:3]
	v_cmp_ge_i32_e64 s[2:3], v55, v7
	v_cmp_ge_i32_sdwa s[42:43], v54, sext(v3) src0_sel:DWORD src1_sel:WORD_1
	s_waitcnt lgkmcnt(0)
	v_cmp_lt_i32_e64 s[4:5], v6, v40
	v_cndmask_b32_e64 v41, 0, 1, s[42:43]
	v_cndmask_b32_e64 v56, 0, 1, s[4:5]
	s_or_b64 s[4:5], s[42:43], s[2:3]
	v_cndmask_b32_e64 v41, v56, v41, s[4:5]
	v_and_b32_e32 v41, 1, v41
	v_cmp_eq_u32_e64 s[4:5], 1, v41
	s_xor_b64 s[44:45], s[4:5], -1
	v_mov_b32_e32 v41, v40
	v_mov_b32_e32 v56, v54
	s_and_saveexec_b64 s[4:5], s[44:45]
	s_cbranch_execz .LBB25_129
; %bb.128:
	v_lshlrev_b32_e32 v41, 2, v54
	ds_read_b32 v41, v41 offset:19460
	v_add_u32_e32 v56, 1, v54
.LBB25_129:
	s_or_b64 exec, exec, s[4:5]
	v_cmp_lt_i32_e64 s[4:5], v40, v6
	s_or_b64 s[2:3], s[2:3], s[4:5]
	s_xor_b64 s[4:5], s[42:43], -1
	s_and_b64 s[42:43], s[4:5], s[2:3]
	s_xor_b64 s[4:5], s[42:43], -1
	v_mov_b32_e32 v57, v55
	s_and_saveexec_b64 s[2:3], s[4:5]
	s_cbranch_execz .LBB25_131
; %bb.130:
	v_lshlrev_b32_e32 v6, 2, v55
	ds_read_b32 v6, v6 offset:19460
	v_add_u32_e32 v57, 1, v55
.LBB25_131:
	s_or_b64 exec, exec, s[2:3]
	v_cmp_ge_i32_e64 s[2:3], v57, v7
	s_waitcnt lgkmcnt(0)
	v_cmp_lt_i32_e64 s[4:5], v41, v6
	v_cmp_lt_i32_sdwa s[44:45], v56, sext(v3) src0_sel:DWORD src1_sel:WORD_1
	s_or_b64 s[2:3], s[2:3], s[4:5]
	v_add_u32_e32 v6, v57, v56
	v_add_u32_sdwa v3, v7, sext(v3) dst_sel:DWORD dst_unused:UNUSED_PAD src0_sel:DWORD src1_sel:WORD_1
	s_and_b64 s[4:5], s[44:45], s[2:3]
	v_cmp_lt_i32_e64 s[2:3], v6, v3
	v_mov_b32_e32 v6, 0x8000
	s_and_b64 s[2:3], s[2:3], s[4:5]
	v_add_u32_e32 v7, v55, v54
	v_cndmask_b32_e64 v6, 0, v6, s[2:3]
	v_cmp_lt_i32_e64 s[2:3], v7, v3
	v_mov_b32_e32 v7, 0x4000
	s_and_b64 s[2:3], s[2:3], s[42:43]
	v_add_u32_e32 v52, v53, v52
	v_cndmask_b32_e64 v7, 0, v7, s[2:3]
	;; [unrolled: 5-line block ×9, first 2 shown]
	v_cmp_lt_i32_e64 s[2:3], v14, v3
	s_and_b64 s[2:3], s[2:3], s[24:25]
	v_add_u32_e32 v12, v13, v12
	v_cndmask_b32_e64 v14, 0, 64, s[2:3]
	v_cmp_lt_i32_e64 s[2:3], v12, v3
	v_add_u32_e32 v10, v11, v10
	s_and_b64 s[16:17], s[2:3], s[16:17]
	v_cmp_lt_i32_e64 s[2:3], v10, v3
	v_add_u32_e32 v8, v9, v8
	s_and_b64 s[18:19], s[2:3], s[18:19]
	;; [unrolled: 3-line block ×5, first 2 shown]
	v_cmp_lt_i32_e64 s[2:3], v1, v3
	s_and_b64 s[26:27], s[2:3], vcc
	v_cndmask_b32_e64 v4, 0, 4, s[22:23]
	v_cndmask_b32_e64 v0, 0, 2, s[24:25]
	;; [unrolled: 1-line block ×5, first 2 shown]
	v_or3_b32 v0, v0, v1, v4
	v_cndmask_b32_e64 v12, 0, 32, s[16:17]
	v_or3_b32 v0, v0, v8, v10
	v_or3_b32 v47, v0, v12, v14
	v_or_b32_e32 v46, v18, v47
	v_or3_b32 v45, v42, v44, v46
	v_or3_b32 v44, v49, v48, v45
	;; [unrolled: 1-line block ×4, first 2 shown]
	v_bcnt_u32_b32 v8, v42, 0
	s_cmp_lg_u32 s14, 0
	v_mov_b32_e32 v9, 0
	s_barrier
	s_cbranch_scc0 .LBB25_160
; %bb.132:
	v_mov_b32_dpp v1, v8 row_shr:1 row_mask:0xf bank_mask:0xf
	v_mbcnt_lo_u32_b32 v0, -1, 0
	v_add_co_u32_e32 v1, vcc, v1, v8
	v_mbcnt_hi_u32_b32 v18, -1, v0
	v_mov_b32_dpp v2, v9 row_shr:1 row_mask:0xf bank_mask:0xf
	v_addc_co_u32_e64 v3, s[2:3], 0, 0, vcc
	v_add_co_u32_e32 v4, vcc, 0, v1
	v_and_b32_e32 v0, 15, v18
	v_addc_co_u32_e32 v2, vcc, v2, v3, vcc
	v_cmp_eq_u32_e32 vcc, 0, v0
	v_cndmask_b32_e32 v1, v1, v8, vcc
	v_cndmask_b32_e64 v2, v2, 0, vcc
	v_cndmask_b32_e32 v3, v4, v8, vcc
	v_mov_b32_dpp v4, v1 row_shr:2 row_mask:0xf bank_mask:0xf
	v_mov_b32_dpp v5, v2 row_shr:2 row_mask:0xf bank_mask:0xf
	v_add_co_u32_e32 v4, vcc, v4, v3
	v_addc_co_u32_e32 v5, vcc, v5, v2, vcc
	v_cmp_lt_u32_e32 vcc, 1, v0
	v_cndmask_b32_e32 v1, v1, v4, vcc
	v_cndmask_b32_e32 v2, v2, v5, vcc
	v_cndmask_b32_e32 v3, v3, v4, vcc
	v_mov_b32_dpp v4, v1 row_shr:4 row_mask:0xf bank_mask:0xf
	v_mov_b32_dpp v5, v2 row_shr:4 row_mask:0xf bank_mask:0xf
	v_add_co_u32_e32 v4, vcc, v4, v3
	v_addc_co_u32_e32 v5, vcc, v5, v2, vcc
	v_cmp_lt_u32_e32 vcc, 3, v0
	v_cndmask_b32_e32 v1, v1, v4, vcc
	v_cndmask_b32_e32 v2, v2, v5, vcc
	;; [unrolled: 8-line block ×3, first 2 shown]
	v_cndmask_b32_e32 v2, v4, v6, vcc
	v_mov_b32_dpp v1, v0 row_bcast:15 row_mask:0xf bank_mask:0xf
	v_mov_b32_dpp v5, v3 row_bcast:15 row_mask:0xf bank_mask:0xf
	v_add_co_u32_e32 v4, vcc, v1, v2
	v_and_b32_e32 v7, 16, v18
	v_addc_co_u32_e32 v6, vcc, v5, v3, vcc
	v_cmp_eq_u32_e32 vcc, 0, v7
	v_cndmask_b32_e32 v1, v6, v3, vcc
	v_cndmask_b32_e32 v0, v4, v0, vcc
	v_cmp_eq_u32_e64 s[2:3], 0, v18
	v_mov_b32_dpp v7, v1 row_bcast:31 row_mask:0xf bank_mask:0xf
	v_mov_b32_dpp v5, v0 row_bcast:31 row_mask:0xf bank_mask:0xf
	v_cmp_ne_u32_e64 s[4:5], 0, v18
	v_pk_mov_b32 v[0:1], v[8:9], v[8:9] op_sel:[0,1]
	s_and_saveexec_b64 s[6:7], s[4:5]
; %bb.133:
	v_cndmask_b32_e32 v1, v6, v3, vcc
	v_cndmask_b32_e32 v0, v4, v2, vcc
	v_cmp_lt_u32_e32 vcc, 31, v18
	v_cndmask_b32_e32 v3, 0, v5, vcc
	v_cndmask_b32_e32 v2, 0, v7, vcc
	v_add_co_u32_e32 v0, vcc, v3, v0
	v_addc_co_u32_e32 v1, vcc, v2, v1, vcc
; %bb.134:
	s_or_b64 exec, exec, s[6:7]
	v_and_b32_e32 v3, 0x3c0, v16
	v_min_u32_e32 v3, 0xc0, v3
	v_lshrrev_b32_e32 v2, 6, v16
	v_or_b32_e32 v3, 63, v3
	v_cmp_eq_u32_e32 vcc, v3, v16
	v_lshlrev_b32_e32 v2, 3, v2
	s_and_saveexec_b64 s[4:5], vcc
	s_cbranch_execz .LBB25_136
; %bb.135:
	ds_write_b64 v2, v[0:1] offset:18432
.LBB25_136:
	s_or_b64 exec, exec, s[4:5]
	v_cmp_gt_u32_e32 vcc, 4, v16
	s_waitcnt lgkmcnt(0)
	s_barrier
	s_and_saveexec_b64 s[6:7], vcc
	s_cbranch_execz .LBB25_138
; %bb.137:
	v_lshlrev_b32_e32 v1, 3, v16
	ds_read_b64 v[4:5], v1 offset:18432
	v_and_b32_e32 v3, 3, v18
	v_cmp_ne_u32_e64 s[4:5], 1, v3
	s_waitcnt lgkmcnt(0)
	v_mov_b32_dpp v6, v4 row_shr:1 row_mask:0xf bank_mask:0xf
	v_add_co_u32_e32 v6, vcc, v4, v6
	v_addc_co_u32_e32 v10, vcc, 0, v5, vcc
	v_mov_b32_dpp v7, v5 row_shr:1 row_mask:0xf bank_mask:0xf
	v_add_co_u32_e32 v11, vcc, 0, v6
	v_addc_co_u32_e32 v7, vcc, v7, v10, vcc
	v_cmp_eq_u32_e32 vcc, 0, v3
	v_cndmask_b32_e32 v6, v6, v4, vcc
	v_cndmask_b32_e32 v10, v7, v5, vcc
	s_nop 0
	v_mov_b32_dpp v6, v6 row_shr:2 row_mask:0xf bank_mask:0xf
	v_mov_b32_dpp v10, v10 row_shr:2 row_mask:0xf bank_mask:0xf
	v_cndmask_b32_e64 v3, 0, v6, s[4:5]
	v_cndmask_b32_e64 v6, 0, v10, s[4:5]
	v_add_co_u32_e64 v3, s[4:5], v3, v11
	v_addc_co_u32_e64 v6, s[4:5], v6, v7, s[4:5]
	v_cndmask_b32_e32 v5, v6, v5, vcc
	v_cndmask_b32_e32 v4, v3, v4, vcc
	ds_write_b64 v1, v[4:5] offset:18432
.LBB25_138:
	s_or_b64 exec, exec, s[6:7]
	v_cmp_gt_u32_e32 vcc, 64, v16
	v_cmp_lt_u32_e64 s[4:5], 63, v16
	s_waitcnt lgkmcnt(0)
	s_barrier
	s_waitcnt lgkmcnt(0)
                                        ; implicit-def: $vgpr10_vgpr11
	s_and_saveexec_b64 s[6:7], s[4:5]
	s_cbranch_execz .LBB25_140
; %bb.139:
	ds_read_b64 v[10:11], v2 offset:18424
	s_waitcnt lgkmcnt(0)
	v_add_co_u32_e64 v0, s[4:5], v10, v0
.LBB25_140:
	s_or_b64 exec, exec, s[6:7]
	v_add_u32_e32 v1, -1, v18
	v_and_b32_e32 v2, 64, v18
	v_cmp_lt_i32_e64 s[4:5], v1, v2
	v_cndmask_b32_e64 v1, v1, v18, s[4:5]
	v_lshlrev_b32_e32 v1, 2, v1
	ds_bpermute_b32 v11, v1, v0
	s_and_saveexec_b64 s[28:29], vcc
	s_cbranch_execz .LBB25_159
; %bb.141:
	v_mov_b32_e32 v3, 0
	ds_read_b64 v[0:1], v3 offset:18456
	s_and_saveexec_b64 s[4:5], s[2:3]
	s_cbranch_execz .LBB25_143
; %bb.142:
	s_add_i32 s6, s14, 64
	s_mov_b32 s7, 0
	s_lshl_b64 s[6:7], s[6:7], 4
	s_add_u32 s6, s12, s6
	s_addc_u32 s7, s13, s7
	v_mov_b32_e32 v2, 1
	v_pk_mov_b32 v[4:5], s[6:7], s[6:7] op_sel:[0,1]
	s_waitcnt lgkmcnt(0)
	;;#ASMSTART
	global_store_dwordx4 v[4:5], v[0:3] off	
s_waitcnt vmcnt(0)
	;;#ASMEND
.LBB25_143:
	s_or_b64 exec, exec, s[4:5]
	v_xad_u32 v12, v18, -1, s14
	v_add_u32_e32 v2, 64, v12
	v_lshlrev_b64 v[4:5], 4, v[2:3]
	v_mov_b32_e32 v2, s13
	v_add_co_u32_e32 v14, vcc, s12, v4
	v_addc_co_u32_e32 v15, vcc, v2, v5, vcc
	;;#ASMSTART
	global_load_dwordx4 v[4:7], v[14:15] off glc	
s_waitcnt vmcnt(0)
	;;#ASMEND
	v_and_b32_e32 v2, 0xff, v5
	v_and_b32_e32 v7, 0xff00, v5
	;; [unrolled: 1-line block ×3, first 2 shown]
	v_or3_b32 v2, 0, v2, v7
	v_or3_b32 v4, v4, 0, 0
	v_and_b32_e32 v5, 0xff000000, v5
	v_or3_b32 v5, v2, v13, v5
	v_or3_b32 v4, v4, 0, 0
	v_cmp_eq_u16_sdwa s[6:7], v6, v3 src0_sel:BYTE_0 src1_sel:DWORD
	s_and_saveexec_b64 s[4:5], s[6:7]
	s_cbranch_execz .LBB25_147
; %bb.144:
	s_mov_b64 s[6:7], 0
	v_mov_b32_e32 v2, 0
.LBB25_145:                             ; =>This Inner Loop Header: Depth=1
	;;#ASMSTART
	global_load_dwordx4 v[4:7], v[14:15] off glc	
s_waitcnt vmcnt(0)
	;;#ASMEND
	v_cmp_ne_u16_sdwa s[30:31], v6, v2 src0_sel:BYTE_0 src1_sel:DWORD
	s_or_b64 s[6:7], s[30:31], s[6:7]
	s_andn2_b64 exec, exec, s[6:7]
	s_cbranch_execnz .LBB25_145
; %bb.146:
	s_or_b64 exec, exec, s[6:7]
.LBB25_147:
	s_or_b64 exec, exec, s[4:5]
	v_and_b32_e32 v49, 63, v18
	v_mov_b32_e32 v48, 2
	v_cmp_ne_u32_e32 vcc, 63, v49
	v_cmp_eq_u16_sdwa s[4:5], v6, v48 src0_sel:BYTE_0 src1_sel:DWORD
	v_lshlrev_b64 v[14:15], v18, -1
	v_addc_co_u32_e32 v7, vcc, 0, v18, vcc
	v_and_b32_e32 v2, s5, v15
	v_lshlrev_b32_e32 v50, 2, v7
	v_or_b32_e32 v2, 0x80000000, v2
	ds_bpermute_b32 v7, v50, v4
	v_and_b32_e32 v3, s4, v14
	v_ffbl_b32_e32 v2, v2
	v_add_u32_e32 v2, 32, v2
	v_ffbl_b32_e32 v3, v3
	v_min_u32_e32 v2, v3, v2
	ds_bpermute_b32 v3, v50, v5
	s_waitcnt lgkmcnt(1)
	v_add_co_u32_e32 v7, vcc, v4, v7
	v_addc_co_u32_e32 v19, vcc, 0, v5, vcc
	v_add_co_u32_e32 v52, vcc, 0, v7
	v_cmp_gt_u32_e64 s[4:5], 62, v49
	s_waitcnt lgkmcnt(0)
	v_addc_co_u32_e32 v3, vcc, v3, v19, vcc
	v_cndmask_b32_e64 v19, 0, 1, s[4:5]
	v_cmp_lt_u32_e32 vcc, v49, v2
	v_lshlrev_b32_e32 v19, 1, v19
	v_cndmask_b32_e32 v7, v4, v7, vcc
	v_add_lshl_u32 v51, v19, v18, 2
	v_cndmask_b32_e32 v3, v5, v3, vcc
	ds_bpermute_b32 v19, v51, v7
	ds_bpermute_b32 v53, v51, v3
	v_cndmask_b32_e32 v54, v4, v52, vcc
	v_add_u32_e32 v52, 2, v49
	v_cmp_gt_u32_e64 s[6:7], 60, v49
	s_waitcnt lgkmcnt(1)
	v_add_co_u32_e64 v19, s[4:5], v19, v54
	s_waitcnt lgkmcnt(0)
	v_addc_co_u32_e64 v53, s[4:5], v53, v3, s[4:5]
	v_cmp_gt_u32_e64 s[4:5], v52, v2
	v_cndmask_b32_e64 v3, v53, v3, s[4:5]
	v_cndmask_b32_e64 v53, 0, 1, s[6:7]
	v_lshlrev_b32_e32 v53, 2, v53
	v_cndmask_b32_e64 v7, v19, v7, s[4:5]
	v_add_lshl_u32 v53, v53, v18, 2
	ds_bpermute_b32 v55, v53, v7
	ds_bpermute_b32 v56, v53, v3
	v_cndmask_b32_e64 v19, v19, v54, s[4:5]
	v_add_u32_e32 v54, 4, v49
	v_cmp_gt_u32_e64 s[6:7], 56, v49
	s_waitcnt lgkmcnt(1)
	v_add_co_u32_e64 v57, s[4:5], v55, v19
	s_waitcnt lgkmcnt(0)
	v_addc_co_u32_e64 v55, s[4:5], v56, v3, s[4:5]
	v_cmp_gt_u32_e64 s[4:5], v54, v2
	v_cndmask_b32_e64 v3, v55, v3, s[4:5]
	v_cndmask_b32_e64 v55, 0, 1, s[6:7]
	v_lshlrev_b32_e32 v55, 3, v55
	v_cndmask_b32_e64 v7, v57, v7, s[4:5]
	v_add_lshl_u32 v55, v55, v18, 2
	ds_bpermute_b32 v58, v55, v7
	v_cndmask_b32_e64 v19, v57, v19, s[4:5]
	ds_bpermute_b32 v57, v55, v3
	v_add_u32_e32 v56, 8, v49
	v_cmp_gt_u32_e64 s[6:7], 48, v49
	s_waitcnt lgkmcnt(1)
	v_add_co_u32_e64 v58, s[4:5], v58, v19
	s_waitcnt lgkmcnt(0)
	v_addc_co_u32_e64 v57, s[4:5], v57, v3, s[4:5]
	v_cmp_gt_u32_e64 s[4:5], v56, v2
	v_cndmask_b32_e64 v3, v57, v3, s[4:5]
	v_cndmask_b32_e64 v57, 0, 1, s[6:7]
	v_lshlrev_b32_e32 v57, 4, v57
	v_cndmask_b32_e64 v7, v58, v7, s[4:5]
	v_add_lshl_u32 v57, v57, v18, 2
	ds_bpermute_b32 v59, v57, v7
	ds_bpermute_b32 v60, v57, v3
	v_cndmask_b32_e64 v19, v58, v19, s[4:5]
	v_cmp_gt_u32_e64 s[6:7], 32, v49
	v_add_u32_e32 v58, 16, v49
	s_waitcnt lgkmcnt(1)
	v_add_co_u32_e64 v61, s[4:5], v59, v19
	s_waitcnt lgkmcnt(0)
	v_addc_co_u32_e64 v60, s[4:5], v60, v3, s[4:5]
	v_cndmask_b32_e64 v59, 0, 1, s[6:7]
	v_cmp_gt_u32_e64 s[4:5], v58, v2
	v_lshlrev_b32_e32 v59, 5, v59
	v_cndmask_b32_e64 v7, v61, v7, s[4:5]
	v_add_lshl_u32 v59, v59, v18, 2
	v_cndmask_b32_e64 v3, v60, v3, s[4:5]
	ds_bpermute_b32 v7, v59, v7
	ds_bpermute_b32 v18, v59, v3
	v_add_u32_e32 v60, 32, v49
	v_cndmask_b32_e64 v19, v61, v19, s[4:5]
	v_cmp_le_u32_e64 s[4:5], v60, v2
	s_waitcnt lgkmcnt(1)
	v_cndmask_b32_e64 v7, 0, v7, s[4:5]
	s_waitcnt lgkmcnt(0)
	v_cndmask_b32_e64 v2, 0, v18, s[4:5]
	v_add_co_u32_e64 v7, s[4:5], v7, v19
	v_addc_co_u32_e64 v2, s[4:5], v2, v3, s[4:5]
	v_mov_b32_e32 v13, 0
	v_cndmask_b32_e32 v5, v5, v2, vcc
	v_cndmask_b32_e32 v4, v4, v7, vcc
	s_branch .LBB25_149
.LBB25_148:                             ;   in Loop: Header=BB25_149 Depth=1
	s_or_b64 exec, exec, s[4:5]
	v_cmp_eq_u16_sdwa s[4:5], v6, v48 src0_sel:BYTE_0 src1_sel:DWORD
	v_and_b32_e32 v7, s5, v15
	v_or_b32_e32 v7, 0x80000000, v7
	ds_bpermute_b32 v19, v50, v4
	v_and_b32_e32 v18, s4, v14
	v_ffbl_b32_e32 v7, v7
	v_add_u32_e32 v7, 32, v7
	v_ffbl_b32_e32 v18, v18
	v_min_u32_e32 v7, v18, v7
	ds_bpermute_b32 v18, v50, v5
	s_waitcnt lgkmcnt(1)
	v_add_co_u32_e32 v19, vcc, v4, v19
	v_addc_co_u32_e32 v61, vcc, 0, v5, vcc
	v_add_co_u32_e32 v62, vcc, 0, v19
	s_waitcnt lgkmcnt(0)
	v_addc_co_u32_e32 v18, vcc, v18, v61, vcc
	v_cmp_lt_u32_e32 vcc, v49, v7
	v_cndmask_b32_e32 v19, v4, v19, vcc
	ds_bpermute_b32 v61, v51, v19
	v_cndmask_b32_e32 v18, v5, v18, vcc
	ds_bpermute_b32 v63, v51, v18
	v_cndmask_b32_e32 v62, v4, v62, vcc
	v_subrev_u32_e32 v12, 64, v12
	s_waitcnt lgkmcnt(1)
	v_add_co_u32_e64 v61, s[4:5], v61, v62
	s_waitcnt lgkmcnt(0)
	v_addc_co_u32_e64 v63, s[4:5], v63, v18, s[4:5]
	v_cmp_gt_u32_e64 s[4:5], v52, v7
	v_cndmask_b32_e64 v19, v61, v19, s[4:5]
	ds_bpermute_b32 v64, v53, v19
	v_cndmask_b32_e64 v18, v63, v18, s[4:5]
	ds_bpermute_b32 v63, v53, v18
	v_cndmask_b32_e64 v61, v61, v62, s[4:5]
	s_waitcnt lgkmcnt(1)
	v_add_co_u32_e64 v62, s[4:5], v64, v61
	s_waitcnt lgkmcnt(0)
	v_addc_co_u32_e64 v63, s[4:5], v63, v18, s[4:5]
	v_cmp_gt_u32_e64 s[4:5], v54, v7
	v_cndmask_b32_e64 v19, v62, v19, s[4:5]
	ds_bpermute_b32 v64, v55, v19
	v_cndmask_b32_e64 v18, v63, v18, s[4:5]
	ds_bpermute_b32 v63, v55, v18
	v_cndmask_b32_e64 v61, v62, v61, s[4:5]
	s_waitcnt lgkmcnt(1)
	v_add_co_u32_e64 v62, s[4:5], v64, v61
	s_waitcnt lgkmcnt(0)
	v_addc_co_u32_e64 v63, s[4:5], v63, v18, s[4:5]
	v_cmp_gt_u32_e64 s[4:5], v56, v7
	v_cndmask_b32_e64 v19, v62, v19, s[4:5]
	ds_bpermute_b32 v64, v57, v19
	v_cndmask_b32_e64 v18, v63, v18, s[4:5]
	ds_bpermute_b32 v63, v57, v18
	v_cndmask_b32_e64 v61, v62, v61, s[4:5]
	s_waitcnt lgkmcnt(1)
	v_add_co_u32_e64 v62, s[4:5], v64, v61
	s_waitcnt lgkmcnt(0)
	v_addc_co_u32_e64 v63, s[4:5], v63, v18, s[4:5]
	v_cmp_gt_u32_e64 s[4:5], v58, v7
	v_cndmask_b32_e64 v19, v62, v19, s[4:5]
	v_cndmask_b32_e64 v18, v63, v18, s[4:5]
	ds_bpermute_b32 v19, v59, v19
	ds_bpermute_b32 v63, v59, v18
	v_cndmask_b32_e64 v61, v62, v61, s[4:5]
	v_cmp_le_u32_e64 s[4:5], v60, v7
	s_waitcnt lgkmcnt(1)
	v_cndmask_b32_e64 v19, 0, v19, s[4:5]
	s_waitcnt lgkmcnt(0)
	v_cndmask_b32_e64 v7, 0, v63, s[4:5]
	v_add_co_u32_e64 v19, s[4:5], v19, v61
	v_addc_co_u32_e64 v7, s[4:5], v7, v18, s[4:5]
	v_cndmask_b32_e32 v4, v4, v19, vcc
	v_cndmask_b32_e32 v5, v5, v7, vcc
	v_add_co_u32_e32 v4, vcc, v4, v2
	v_addc_co_u32_e32 v5, vcc, v5, v3, vcc
.LBB25_149:                             ; =>This Loop Header: Depth=1
                                        ;     Child Loop BB25_152 Depth 2
	v_cmp_ne_u16_sdwa s[4:5], v6, v48 src0_sel:BYTE_0 src1_sel:DWORD
	v_cndmask_b32_e64 v2, 0, 1, s[4:5]
	;;#ASMSTART
	;;#ASMEND
	v_cmp_ne_u32_e32 vcc, 0, v2
	s_cmp_lg_u64 vcc, exec
	v_pk_mov_b32 v[2:3], v[4:5], v[4:5] op_sel:[0,1]
	s_cbranch_scc1 .LBB25_154
; %bb.150:                              ;   in Loop: Header=BB25_149 Depth=1
	v_lshlrev_b64 v[4:5], 4, v[12:13]
	v_mov_b32_e32 v6, s13
	v_add_co_u32_e32 v18, vcc, s12, v4
	v_addc_co_u32_e32 v19, vcc, v6, v5, vcc
	;;#ASMSTART
	global_load_dwordx4 v[4:7], v[18:19] off glc	
s_waitcnt vmcnt(0)
	;;#ASMEND
	v_and_b32_e32 v7, 0xff, v5
	v_and_b32_e32 v61, 0xff00, v5
	;; [unrolled: 1-line block ×3, first 2 shown]
	v_or3_b32 v7, 0, v7, v61
	v_or3_b32 v4, v4, 0, 0
	v_and_b32_e32 v5, 0xff000000, v5
	v_or3_b32 v5, v7, v62, v5
	v_or3_b32 v4, v4, 0, 0
	v_cmp_eq_u16_sdwa s[6:7], v6, v13 src0_sel:BYTE_0 src1_sel:DWORD
	s_and_saveexec_b64 s[4:5], s[6:7]
	s_cbranch_execz .LBB25_148
; %bb.151:                              ;   in Loop: Header=BB25_149 Depth=1
	s_mov_b64 s[6:7], 0
.LBB25_152:                             ;   Parent Loop BB25_149 Depth=1
                                        ; =>  This Inner Loop Header: Depth=2
	;;#ASMSTART
	global_load_dwordx4 v[4:7], v[18:19] off glc	
s_waitcnt vmcnt(0)
	;;#ASMEND
	v_cmp_ne_u16_sdwa s[30:31], v6, v13 src0_sel:BYTE_0 src1_sel:DWORD
	s_or_b64 s[6:7], s[30:31], s[6:7]
	s_andn2_b64 exec, exec, s[6:7]
	s_cbranch_execnz .LBB25_152
; %bb.153:                              ;   in Loop: Header=BB25_149 Depth=1
	s_or_b64 exec, exec, s[6:7]
	s_branch .LBB25_148
.LBB25_154:                             ;   in Loop: Header=BB25_149 Depth=1
                                        ; implicit-def: $vgpr4_vgpr5
                                        ; implicit-def: $vgpr6
	s_cbranch_execz .LBB25_149
; %bb.155:
	s_and_saveexec_b64 s[4:5], s[2:3]
	s_cbranch_execz .LBB25_157
; %bb.156:
	s_add_i32 s6, s14, 64
	s_mov_b32 s7, 0
	s_lshl_b64 s[6:7], s[6:7], 4
	s_add_u32 s6, s12, s6
	v_add_co_u32_e32 v4, vcc, v2, v0
	s_addc_u32 s7, s13, s7
	v_addc_co_u32_e32 v5, vcc, v3, v1, vcc
	v_mov_b32_e32 v6, 2
	v_mov_b32_e32 v7, 0
	v_pk_mov_b32 v[12:13], s[6:7], s[6:7] op_sel:[0,1]
	;;#ASMSTART
	global_store_dwordx4 v[12:13], v[4:7] off	
s_waitcnt vmcnt(0)
	;;#ASMEND
	ds_write_b128 v7, v[0:3] offset:18464
.LBB25_157:
	s_or_b64 exec, exec, s[4:5]
	s_and_b64 exec, exec, s[0:1]
	s_cbranch_execz .LBB25_159
; %bb.158:
	v_mov_b32_e32 v0, 0
	ds_write_b64 v0, v[2:3] offset:18456
.LBB25_159:
	s_or_b64 exec, exec, s[28:29]
	v_mov_b32_e32 v0, 0
	s_waitcnt lgkmcnt(0)
	v_cndmask_b32_e64 v1, v11, v10, s[2:3]
	s_barrier
	ds_read_b64 v[2:3], v0 offset:18456
	s_waitcnt lgkmcnt(0)
	v_cndmask_b32_e64 v3, v1, 0, s[0:1]
	s_barrier
	ds_read_b64 v[0:1], v0 offset:18472
	v_add_co_u32_e32 v4, vcc, v2, v3
	s_movk_i32 s4, 0x4820
	s_branch .LBB25_170
.LBB25_160:
                                        ; implicit-def: $vgpr0_vgpr1
                                        ; implicit-def: $sgpr4
                                        ; implicit-def: $vgpr4_vgpr5
	s_cbranch_execz .LBB25_170
; %bb.161:
	v_mov_b32_dpp v2, v8 row_shr:1 row_mask:0xf bank_mask:0xf
	s_waitcnt lgkmcnt(0)
	v_mov_b32_e32 v0, 0
	v_mbcnt_lo_u32_b32 v1, -1, 0
	v_add_co_u32_e32 v2, vcc, v2, v8
	v_mbcnt_hi_u32_b32 v4, -1, v1
	v_mov_b32_dpp v0, v0 row_shr:1 row_mask:0xf bank_mask:0xf
	v_addc_co_u32_e64 v3, s[2:3], 0, 0, vcc
	v_add_co_u32_e32 v5, vcc, 0, v2
	v_and_b32_e32 v1, 15, v4
	v_addc_co_u32_e32 v0, vcc, v0, v3, vcc
	v_cmp_eq_u32_e32 vcc, 0, v1
	v_cndmask_b32_e32 v2, v2, v8, vcc
	v_cndmask_b32_e64 v0, v0, 0, vcc
	v_cndmask_b32_e32 v3, v5, v8, vcc
	v_mov_b32_dpp v5, v2 row_shr:2 row_mask:0xf bank_mask:0xf
	v_mov_b32_dpp v6, v0 row_shr:2 row_mask:0xf bank_mask:0xf
	v_add_co_u32_e32 v5, vcc, v5, v3
	v_addc_co_u32_e32 v6, vcc, v6, v0, vcc
	v_cmp_lt_u32_e32 vcc, 1, v1
	v_cndmask_b32_e32 v2, v2, v5, vcc
	v_cndmask_b32_e32 v0, v0, v6, vcc
	v_cndmask_b32_e32 v3, v3, v5, vcc
	v_mov_b32_dpp v5, v2 row_shr:4 row_mask:0xf bank_mask:0xf
	v_mov_b32_dpp v6, v0 row_shr:4 row_mask:0xf bank_mask:0xf
	v_add_co_u32_e32 v5, vcc, v5, v3
	v_addc_co_u32_e32 v6, vcc, v6, v0, vcc
	v_cmp_lt_u32_e32 vcc, 3, v1
	v_cndmask_b32_e32 v2, v2, v5, vcc
	v_cndmask_b32_e32 v0, v0, v6, vcc
	;; [unrolled: 8-line block ×3, first 2 shown]
	v_cndmask_b32_e32 v0, v3, v5, vcc
	v_mov_b32_dpp v3, v1 row_bcast:15 row_mask:0xf bank_mask:0xf
	v_mov_b32_dpp v2, v6 row_bcast:15 row_mask:0xf bank_mask:0xf
	v_and_b32_e32 v7, 16, v4
	v_add_co_u32_e32 v2, vcc, v2, v0
	v_addc_co_u32_e32 v5, vcc, v3, v1, vcc
	v_cmp_eq_u32_e64 s[2:3], 0, v7
	v_cndmask_b32_e64 v7, v5, v1, s[2:3]
	v_cndmask_b32_e64 v3, v2, v6, s[2:3]
	v_cmp_eq_u32_e32 vcc, 0, v4
	v_mov_b32_dpp v6, v7 row_bcast:31 row_mask:0xf bank_mask:0xf
	v_mov_b32_dpp v3, v3 row_bcast:31 row_mask:0xf bank_mask:0xf
	v_cmp_ne_u32_e64 s[4:5], 0, v4
	s_and_saveexec_b64 s[6:7], s[4:5]
; %bb.162:
	v_cndmask_b32_e64 v1, v5, v1, s[2:3]
	v_cndmask_b32_e64 v0, v2, v0, s[2:3]
	v_cmp_lt_u32_e64 s[2:3], 31, v4
	v_cndmask_b32_e64 v3, 0, v3, s[2:3]
	v_cndmask_b32_e64 v2, 0, v6, s[2:3]
	v_add_co_u32_e64 v8, s[2:3], v3, v0
	v_addc_co_u32_e64 v9, s[2:3], v2, v1, s[2:3]
; %bb.163:
	s_or_b64 exec, exec, s[6:7]
	v_and_b32_e32 v1, 0x3c0, v16
	v_min_u32_e32 v1, 0xc0, v1
	v_lshrrev_b32_e32 v0, 6, v16
	v_or_b32_e32 v1, 63, v1
	v_cmp_eq_u32_e64 s[2:3], v1, v16
	v_lshlrev_b32_e32 v5, 3, v0
	s_and_saveexec_b64 s[4:5], s[2:3]
	s_cbranch_execz .LBB25_165
; %bb.164:
	ds_write_b64 v5, v[8:9] offset:18432
.LBB25_165:
	s_or_b64 exec, exec, s[4:5]
	v_cmp_gt_u32_e64 s[2:3], 4, v16
	s_waitcnt lgkmcnt(0)
	s_barrier
	s_and_saveexec_b64 s[6:7], s[2:3]
	s_cbranch_execz .LBB25_167
; %bb.166:
	v_lshlrev_b32_e32 v2, 3, v16
	ds_read_b64 v[0:1], v2 offset:18432
	v_and_b32_e32 v3, 3, v4
	v_cmp_ne_u32_e64 s[4:5], 1, v3
	s_waitcnt lgkmcnt(0)
	v_mov_b32_dpp v6, v0 row_shr:1 row_mask:0xf bank_mask:0xf
	v_add_co_u32_e64 v6, s[2:3], v0, v6
	v_addc_co_u32_e64 v9, s[2:3], 0, v1, s[2:3]
	v_mov_b32_dpp v7, v1 row_shr:1 row_mask:0xf bank_mask:0xf
	v_add_co_u32_e64 v10, s[2:3], 0, v6
	v_addc_co_u32_e64 v7, s[2:3], v7, v9, s[2:3]
	v_cmp_eq_u32_e64 s[2:3], 0, v3
	v_cndmask_b32_e64 v6, v6, v0, s[2:3]
	v_cndmask_b32_e64 v9, v7, v1, s[2:3]
	s_nop 0
	v_mov_b32_dpp v6, v6 row_shr:2 row_mask:0xf bank_mask:0xf
	v_mov_b32_dpp v9, v9 row_shr:2 row_mask:0xf bank_mask:0xf
	v_cndmask_b32_e64 v3, 0, v6, s[4:5]
	v_cndmask_b32_e64 v6, 0, v9, s[4:5]
	v_add_co_u32_e64 v3, s[4:5], v3, v10
	v_addc_co_u32_e64 v6, s[4:5], v6, v7, s[4:5]
	v_cndmask_b32_e64 v1, v6, v1, s[2:3]
	v_cndmask_b32_e64 v0, v3, v0, s[2:3]
	ds_write_b64 v2, v[0:1] offset:18432
.LBB25_167:
	s_or_b64 exec, exec, s[6:7]
	v_pk_mov_b32 v[0:1], 0, 0
	v_cmp_lt_u32_e64 s[2:3], 63, v16
	v_pk_mov_b32 v[2:3], v[0:1], v[0:1] op_sel:[0,1]
	s_waitcnt lgkmcnt(0)
	s_barrier
	s_and_saveexec_b64 s[4:5], s[2:3]
	s_cbranch_execz .LBB25_169
; %bb.168:
	ds_read_b64 v[2:3], v5 offset:18424
.LBB25_169:
	s_or_b64 exec, exec, s[4:5]
	v_add_u32_e32 v5, -1, v4
	v_and_b32_e32 v6, 64, v4
	v_cmp_lt_i32_e64 s[2:3], v5, v6
	v_cndmask_b32_e64 v4, v5, v4, s[2:3]
	s_waitcnt lgkmcnt(0)
	v_add_u32_e32 v3, v2, v8
	v_lshlrev_b32_e32 v4, 2, v4
	ds_bpermute_b32 v3, v4, v3
	s_movk_i32 s4, 0x4818
	s_waitcnt lgkmcnt(0)
	v_cndmask_b32_e32 v4, v3, v2, vcc
.LBB25_170:
	v_mov_b32_e32 v2, s4
	ds_read_b64 v[2:3], v2
	s_waitcnt lgkmcnt(1)
	v_sub_u32_e32 v4, v4, v0
	s_waitcnt lgkmcnt(0)
	s_barrier
	s_and_saveexec_b64 s[2:3], s[26:27]
	s_cbranch_execnz .LBB25_221
; %bb.171:
	s_or_b64 exec, exec, s[2:3]
	s_and_saveexec_b64 s[2:3], s[24:25]
	s_cbranch_execnz .LBB25_222
.LBB25_172:
	s_or_b64 exec, exec, s[2:3]
	s_and_saveexec_b64 s[2:3], s[22:23]
	s_cbranch_execnz .LBB25_223
.LBB25_173:
	s_or_b64 exec, exec, s[2:3]
	s_and_saveexec_b64 s[2:3], s[20:21]
	s_cbranch_execnz .LBB25_224
.LBB25_174:
	s_or_b64 exec, exec, s[2:3]
	s_and_saveexec_b64 s[2:3], s[18:19]
	s_cbranch_execnz .LBB25_225
.LBB25_175:
	s_or_b64 exec, exec, s[2:3]
	s_and_saveexec_b64 s[2:3], s[16:17]
	s_cbranch_execz .LBB25_177
.LBB25_176:
	v_lshlrev_b32_e32 v5, 2, v4
	v_add_u32_e32 v4, 1, v4
	ds_write_b32 v5, v31 offset:19456
.LBB25_177:
	s_or_b64 exec, exec, s[2:3]
	v_and_b32_e32 v5, 64, v47
	v_cmp_ne_u32_e32 vcc, 0, v5
	s_and_saveexec_b64 s[2:3], vcc
	s_cbranch_execz .LBB25_179
; %bb.178:
	v_lshlrev_b32_e32 v5, 2, v4
	v_add_u32_e32 v4, 1, v4
	ds_write_b32 v5, v32 offset:19456
.LBB25_179:
	s_or_b64 exec, exec, s[2:3]
	v_and_b32_e32 v5, 0x80, v46
	v_cmp_ne_u32_e32 vcc, 0, v5
	s_and_saveexec_b64 s[2:3], vcc
	s_cbranch_execz .LBB25_181
; %bb.180:
	v_lshlrev_b32_e32 v5, 2, v4
	v_add_u32_e32 v4, 1, v4
	ds_write_b32 v5, v33 offset:19456
.LBB25_181:
	;; [unrolled: 10-line block ×9, first 2 shown]
	s_or_b64 exec, exec, s[2:3]
	v_and_b32_e32 v5, 0x8000, v42
	v_cmp_ne_u32_e32 vcc, 0, v5
	s_and_saveexec_b64 s[2:3], vcc
	s_cbranch_execz .LBB25_197
; %bb.196:
	v_lshlrev_b32_e32 v4, 2, v4
	ds_write_b32 v4, v41 offset:19456
.LBB25_197:
	s_or_b64 exec, exec, s[2:3]
	v_cmp_lt_i32_e32 vcc, v16, v2
	s_waitcnt lgkmcnt(0)
	s_barrier
	s_and_saveexec_b64 s[4:5], vcc
	s_cbranch_execz .LBB25_205
; %bb.198:
	v_xad_u32 v7, v16, -1, v2
	s_movk_i32 s2, 0xff
	v_cmp_lt_u32_e32 vcc, s2, v7
	s_mov_b64 s[2:3], -1
	v_lshlrev_b64 v[4:5], 2, v[0:1]
	v_mov_b32_e32 v6, v16
	s_and_saveexec_b64 s[6:7], vcc
	s_cbranch_execz .LBB25_202
; %bb.199:
	v_lshrrev_b32_e32 v6, 8, v7
	v_add_u32_e32 v10, 1, v6
	v_mov_b32_e32 v6, s9
	v_add_co_u32_e32 v12, vcc, s8, v4
	v_and_b32_e32 v11, 0x1fffffe, v10
	v_add_u32_e32 v17, 0x100, v16
	v_addc_co_u32_e32 v13, vcc, v6, v5, vcc
	s_mov_b64 s[16:17], 0
	v_mov_b32_e32 v7, 0
	v_mov_b32_e32 v14, v11
	v_pk_mov_b32 v[8:9], v[16:17], v[16:17] op_sel:[0,1]
.LBB25_200:                             ; =>This Inner Loop Header: Depth=1
	ds_read2st64_b32 v[18:19], v26 offset1:4
	v_mov_b32_e32 v6, v8
	v_add_u32_e32 v14, -2, v14
	v_lshlrev_b64 v[28:29], 2, v[6:7]
	v_mov_b32_e32 v6, v9
	v_cmp_eq_u32_e32 vcc, 0, v14
	v_add_co_u32_e64 v28, s[2:3], v12, v28
	v_lshlrev_b64 v[30:31], 2, v[6:7]
	v_add_u32_e32 v8, 0x200, v8
	v_add_u32_e32 v26, 0x800, v26
	;; [unrolled: 1-line block ×3, first 2 shown]
	v_addc_co_u32_e64 v29, s[2:3], v13, v29, s[2:3]
	s_or_b64 s[16:17], vcc, s[16:17]
	v_add_co_u32_e32 v30, vcc, v12, v30
	v_addc_co_u32_e32 v31, vcc, v13, v31, vcc
	s_waitcnt lgkmcnt(0)
	global_store_dword v[28:29], v18, off
	global_store_dword v[30:31], v19, off
	s_andn2_b64 exec, exec, s[16:17]
	s_cbranch_execnz .LBB25_200
; %bb.201:
	s_or_b64 exec, exec, s[16:17]
	v_cmp_ne_u32_e32 vcc, v10, v11
	v_lshl_add_u32 v6, v11, 8, v16
	s_orn2_b64 s[2:3], vcc, exec
.LBB25_202:
	s_or_b64 exec, exec, s[6:7]
	s_and_b64 exec, exec, s[2:3]
	s_cbranch_execz .LBB25_205
; %bb.203:
	v_mov_b32_e32 v7, 0x4c00
	v_lshl_add_u32 v8, v6, 2, v7
	v_mov_b32_e32 v7, 0
	v_lshlrev_b64 v[10:11], 2, v[6:7]
	v_mov_b32_e32 v7, s9
	v_add_co_u32_e32 v4, vcc, s8, v4
	v_addc_co_u32_e32 v5, vcc, v7, v5, vcc
	v_add_co_u32_e32 v4, vcc, v4, v10
	v_addc_co_u32_e32 v5, vcc, v5, v11, vcc
	s_mov_b64 s[2:3], 0
.LBB25_204:                             ; =>This Inner Loop Header: Depth=1
	ds_read_b32 v7, v8
	v_add_u32_e32 v6, 0x100, v6
	v_cmp_ge_i32_e32 vcc, v6, v2
	s_or_b64 s[2:3], vcc, s[2:3]
	v_add_u32_e32 v8, 0x400, v8
	s_waitcnt lgkmcnt(0)
	global_store_dword v[4:5], v7, off
	v_add_co_u32_e32 v4, vcc, 0x400, v4
	v_addc_co_u32_e32 v5, vcc, 0, v5, vcc
	s_andn2_b64 exec, exec, s[2:3]
	s_cbranch_execnz .LBB25_204
.LBB25_205:
	s_or_b64 exec, exec, s[4:5]
	s_and_saveexec_b64 s[2:3], s[0:1]
	s_cbranch_execz .LBB25_207
; %bb.206:
	v_add_co_u32_e32 v0, vcc, v2, v0
	v_mov_b32_e32 v4, 0
	v_addc_co_u32_e32 v1, vcc, v3, v1, vcc
	global_store_dwordx2 v4, v[0:1], s[10:11]
.LBB25_207:
	s_or_b64 exec, exec, s[2:3]
	s_mov_b64 s[0:1], 0
.LBB25_208:
	s_and_b64 vcc, exec, s[0:1]
	s_cbranch_vccz .LBB25_388
; %bb.209:
	v_lshlrev_b32_e32 v2, 2, v16
	v_sub_u32_e32 v4, v16, v20
	v_add_co_u32_e32 v3, vcc, v24, v2
	v_ashrrev_i32_e32 v5, 31, v4
	v_addc_co_u32_e32 v1, vcc, 0, v25, vcc
	v_lshlrev_b64 v[4:5], 2, v[4:5]
	v_add_co_u32_e32 v0, vcc, v22, v4
	v_addc_co_u32_e32 v4, vcc, v23, v5, vcc
	v_cmp_lt_i32_e32 vcc, v16, v20
	v_cndmask_b32_e32 v5, v4, v1, vcc
	v_cndmask_b32_e32 v4, v0, v3, vcc
	global_load_dword v0, v[4:5], off
	v_ashrrev_i32_e32 v5, 31, v20
	v_sub_co_u32_e32 v4, vcc, v16, v20
	v_subb_co_u32_e32 v5, vcc, 0, v5, vcc
	v_lshlrev_b64 v[4:5], 2, v[4:5]
	v_add_co_u32_e32 v8, vcc, v22, v4
	v_add_u32_e32 v6, 0x100, v16
	v_addc_co_u32_e32 v9, vcc, v23, v5, vcc
	v_cmp_lt_i32_e32 vcc, v6, v20
	v_cndmask_b32_e32 v5, v9, v1, vcc
	v_cndmask_b32_e32 v4, v8, v3, vcc
	global_load_dword v4, v[4:5], off offset:1024
	v_add_u32_e32 v5, 0x200, v16
	v_cmp_lt_i32_e32 vcc, v5, v20
	v_cndmask_b32_e32 v7, v9, v1, vcc
	v_cndmask_b32_e32 v6, v8, v3, vcc
	global_load_dword v5, v[6:7], off offset:2048
	v_add_u32_e32 v6, 0x300, v16
	v_cmp_lt_i32_e32 vcc, v6, v20
	v_cndmask_b32_e32 v7, v9, v1, vcc
	v_cndmask_b32_e32 v6, v8, v3, vcc
	global_load_dword v6, v[6:7], off offset:3072
	v_or_b32_e32 v7, 0x400, v16
	v_lshlrev_b32_e32 v8, 2, v7
	v_add_co_u32_e32 v10, vcc, v24, v8
	v_sub_u32_e32 v8, v7, v20
	v_ashrrev_i32_e32 v9, 31, v8
	v_addc_co_u32_e32 v11, vcc, 0, v25, vcc
	v_lshlrev_b64 v[8:9], 2, v[8:9]
	v_add_co_u32_e32 v8, vcc, v22, v8
	v_addc_co_u32_e32 v9, vcc, v23, v9, vcc
	v_cmp_lt_i32_e32 vcc, v7, v20
	v_cndmask_b32_e32 v9, v9, v11, vcc
	v_cndmask_b32_e32 v8, v8, v10, vcc
	v_add_u32_e32 v10, 0x500, v16
	global_load_dword v7, v[8:9], off
	s_movk_i32 s0, 0x1400
	v_sub_u32_e32 v8, v10, v20
	v_add_co_u32_e32 v11, vcc, s0, v3
	v_ashrrev_i32_e32 v9, 31, v8
	v_addc_co_u32_e32 v12, vcc, 0, v1, vcc
	v_lshlrev_b64 v[8:9], 2, v[8:9]
	v_add_co_u32_e32 v8, vcc, v22, v8
	v_addc_co_u32_e32 v9, vcc, v23, v9, vcc
	v_cmp_lt_i32_e32 vcc, v10, v20
	v_cndmask_b32_e32 v9, v9, v12, vcc
	v_cndmask_b32_e32 v8, v8, v11, vcc
	global_load_dword v8, v[8:9], off
	v_add_u32_e32 v9, 0x600, v16
	s_movk_i32 s0, 0x1800
	v_sub_u32_e32 v10, v9, v20
	v_add_co_u32_e32 v12, vcc, s0, v3
	v_ashrrev_i32_e32 v11, 31, v10
	v_addc_co_u32_e32 v13, vcc, 0, v1, vcc
	v_lshlrev_b64 v[10:11], 2, v[10:11]
	v_add_co_u32_e32 v10, vcc, v22, v10
	v_addc_co_u32_e32 v11, vcc, v23, v11, vcc
	v_cmp_lt_i32_e32 vcc, v9, v20
	v_cndmask_b32_e32 v11, v11, v13, vcc
	v_cndmask_b32_e32 v10, v10, v12, vcc
	v_add_u32_e32 v12, 0x700, v16
	global_load_dword v9, v[10:11], off
	s_movk_i32 s0, 0x1c00
	v_sub_u32_e32 v10, v12, v20
	v_add_co_u32_e32 v13, vcc, s0, v3
	v_ashrrev_i32_e32 v11, 31, v10
	v_addc_co_u32_e32 v14, vcc, 0, v1, vcc
	v_lshlrev_b64 v[10:11], 2, v[10:11]
	v_add_co_u32_e32 v10, vcc, v22, v10
	v_addc_co_u32_e32 v11, vcc, v23, v11, vcc
	v_cmp_lt_i32_e32 vcc, v12, v20
	v_cndmask_b32_e32 v11, v11, v14, vcc
	v_cndmask_b32_e32 v10, v10, v13, vcc
	global_load_dword v10, v[10:11], off
	v_or_b32_e32 v11, 0x800, v16
	v_lshlrev_b32_e32 v12, 2, v11
	v_add_co_u32_e32 v14, vcc, v24, v12
	v_sub_u32_e32 v12, v11, v20
	v_ashrrev_i32_e32 v13, 31, v12
	v_addc_co_u32_e32 v15, vcc, 0, v25, vcc
	v_lshlrev_b64 v[12:13], 2, v[12:13]
	v_add_co_u32_e32 v12, vcc, v22, v12
	v_addc_co_u32_e32 v13, vcc, v23, v13, vcc
	v_cmp_lt_i32_e32 vcc, v11, v20
	v_cndmask_b32_e32 v13, v13, v15, vcc
	v_cndmask_b32_e32 v12, v12, v14, vcc
	v_add_u32_e32 v14, 0x900, v16
	global_load_dword v11, v[12:13], off
	s_movk_i32 s0, 0x2400
	v_sub_u32_e32 v12, v14, v20
	v_add_co_u32_e32 v15, vcc, s0, v3
	v_ashrrev_i32_e32 v13, 31, v12
	v_addc_co_u32_e32 v17, vcc, 0, v1, vcc
	v_lshlrev_b64 v[12:13], 2, v[12:13]
	v_add_co_u32_e32 v12, vcc, v22, v12
	v_addc_co_u32_e32 v13, vcc, v23, v13, vcc
	v_cmp_lt_i32_e32 vcc, v14, v20
	v_cndmask_b32_e32 v13, v13, v17, vcc
	v_cndmask_b32_e32 v12, v12, v15, vcc
	global_load_dword v12, v[12:13], off
	v_add_u32_e32 v13, 0xa00, v16
	s_movk_i32 s0, 0x2800
	v_sub_u32_e32 v14, v13, v20
	v_add_co_u32_e32 v17, vcc, s0, v3
	v_ashrrev_i32_e32 v15, 31, v14
	v_addc_co_u32_e32 v18, vcc, 0, v1, vcc
	v_lshlrev_b64 v[14:15], 2, v[14:15]
	v_add_co_u32_e32 v14, vcc, v22, v14
	v_addc_co_u32_e32 v15, vcc, v23, v15, vcc
	v_cmp_lt_i32_e32 vcc, v13, v20
	v_cndmask_b32_e32 v15, v15, v18, vcc
	v_cndmask_b32_e32 v14, v14, v17, vcc
	v_add_u32_e32 v17, 0xb00, v16
	global_load_dword v13, v[14:15], off
	s_movk_i32 s0, 0x2c00
	v_sub_u32_e32 v14, v17, v20
	v_add_co_u32_e32 v18, vcc, s0, v3
	v_ashrrev_i32_e32 v15, 31, v14
	v_addc_co_u32_e32 v19, vcc, 0, v1, vcc
	v_lshlrev_b64 v[14:15], 2, v[14:15]
	v_add_co_u32_e32 v14, vcc, v22, v14
	v_addc_co_u32_e32 v15, vcc, v23, v15, vcc
	v_cmp_lt_i32_e32 vcc, v17, v20
	v_cndmask_b32_e32 v15, v15, v19, vcc
	v_cndmask_b32_e32 v14, v14, v18, vcc
	global_load_dword v14, v[14:15], off
	v_or_b32_e32 v15, 0xc00, v16
	v_lshlrev_b32_e32 v17, 2, v15
	v_sub_u32_e32 v18, v15, v20
	v_add_co_u32_e32 v17, vcc, v24, v17
	v_ashrrev_i32_e32 v19, 31, v18
	v_addc_co_u32_e32 v24, vcc, 0, v25, vcc
	v_lshlrev_b64 v[18:19], 2, v[18:19]
	v_add_co_u32_e32 v18, vcc, v22, v18
	v_addc_co_u32_e32 v19, vcc, v23, v19, vcc
	v_cmp_lt_i32_e32 vcc, v15, v20
	v_cndmask_b32_e32 v19, v19, v24, vcc
	v_cndmask_b32_e32 v18, v18, v17, vcc
	v_add_u32_e32 v17, 0xd00, v16
	global_load_dword v15, v[18:19], off
	s_movk_i32 s0, 0x3400
	v_sub_u32_e32 v18, v17, v20
	v_add_co_u32_e32 v24, vcc, s0, v3
	v_ashrrev_i32_e32 v19, 31, v18
	v_addc_co_u32_e32 v25, vcc, 0, v1, vcc
	v_lshlrev_b64 v[18:19], 2, v[18:19]
	v_add_co_u32_e32 v18, vcc, v22, v18
	v_addc_co_u32_e32 v19, vcc, v23, v19, vcc
	v_cmp_lt_i32_e32 vcc, v17, v20
	v_add_u32_e32 v17, 0xe00, v16
	v_cndmask_b32_e32 v19, v19, v25, vcc
	v_cndmask_b32_e32 v18, v18, v24, vcc
	s_movk_i32 s0, 0x3800
	v_sub_u32_e32 v24, v17, v20
	global_load_dword v18, v[18:19], off
	v_add_co_u32_e32 v19, vcc, s0, v3
	v_ashrrev_i32_e32 v25, 31, v24
	v_addc_co_u32_e32 v26, vcc, 0, v1, vcc
	v_lshlrev_b64 v[24:25], 2, v[24:25]
	v_add_co_u32_e32 v24, vcc, v22, v24
	v_addc_co_u32_e32 v25, vcc, v23, v25, vcc
	v_cmp_lt_i32_e32 vcc, v17, v20
	v_cndmask_b32_e32 v25, v25, v26, vcc
	v_cndmask_b32_e32 v24, v24, v19, vcc
	global_load_dword v24, v[24:25], off
	v_add_u32_e32 v25, 0xf00, v16
	v_add_u32_e32 v19, v21, v20
	v_mov_b32_e32 v17, 0
	v_cmp_lt_i32_e32 vcc, v25, v19
                                        ; implicit-def: $vgpr26
	s_and_saveexec_b64 s[0:1], vcc
	s_cbranch_execz .LBB25_211
; %bb.210:
	v_sub_u32_e32 v26, v25, v20
	v_add_co_u32_e32 v3, vcc, 0x3c00, v3
	v_ashrrev_i32_e32 v27, 31, v26
	v_addc_co_u32_e32 v1, vcc, 0, v1, vcc
	v_lshlrev_b64 v[26:27], 2, v[26:27]
	v_add_co_u32_e32 v22, vcc, v22, v26
	v_addc_co_u32_e32 v23, vcc, v23, v27, vcc
	v_cmp_lt_i32_e32 vcc, v25, v20
	v_cndmask_b32_e32 v23, v23, v1, vcc
	v_cndmask_b32_e32 v22, v22, v3, vcc
	global_load_dword v26, v[22:23], off
.LBB25_211:
	s_or_b64 exec, exec, s[0:1]
	s_waitcnt vmcnt(13)
	ds_write2st64_b32 v2, v0, v4 offset0:4 offset1:8
	s_waitcnt vmcnt(11)
	ds_write2st64_b32 v2, v5, v6 offset0:12 offset1:16
	;; [unrolled: 2-line block ×8, first 2 shown]
	v_lshlrev_b32_e32 v0, 4, v16
	v_min_i32_e32 v1, v19, v0
	v_sub_u32_e32 v0, v1, v21
	v_max_i32_e32 v0, 0, v0
	v_min_i32_e32 v4, v20, v1
	v_lshlrev_b32_e32 v3, 2, v20
	v_cmp_lt_i32_e32 vcc, v0, v4
	s_waitcnt lgkmcnt(0)
	s_barrier
	s_and_saveexec_b64 s[0:1], vcc
	s_cbranch_execz .LBB25_215
; %bb.212:
	v_lshl_add_u32 v5, v1, 2, v3
	v_add_u32_e32 v5, 0x400, v5
	s_mov_b64 s[2:3], 0
.LBB25_213:                             ; =>This Inner Loop Header: Depth=1
	v_add_u32_e32 v6, v4, v0
	v_ashrrev_i32_e32 v6, 1, v6
	v_not_b32_e32 v8, v6
	v_lshlrev_b32_e32 v7, 2, v6
	v_lshl_add_u32 v8, v8, 2, v5
	ds_read_b32 v7, v7 offset:1024
	ds_read_b32 v8, v8
	v_add_u32_e32 v9, 1, v6
	s_waitcnt lgkmcnt(0)
	v_cmp_lt_i32_e32 vcc, v8, v7
	v_cndmask_b32_e32 v4, v4, v6, vcc
	v_cndmask_b32_e32 v0, v9, v0, vcc
	v_cmp_ge_i32_e32 vcc, v0, v4
	s_or_b64 s[2:3], vcc, s[2:3]
	s_andn2_b64 exec, exec, s[2:3]
	s_cbranch_execnz .LBB25_213
; %bb.214:
	s_or_b64 exec, exec, s[2:3]
.LBB25_215:
	s_or_b64 exec, exec, s[0:1]
	v_sub_u32_e32 v6, v1, v0
	v_add_u32_e32 v22, 0x400, v2
	v_cmp_lt_i32_e32 vcc, v6, v21
	v_mov_b32_e32 v5, 0
	s_and_saveexec_b64 s[2:3], vcc
	s_cbranch_execz .LBB25_250
; %bb.216:
	v_lshl_add_u32 v7, v6, 2, v3
	ds_read_b32 v5, v7 offset:1024
	v_cmp_lt_i32_e32 vcc, 0, v0
	v_mov_b32_e32 v4, 0
	v_mov_b32_e32 v8, v0
	s_and_saveexec_b64 s[0:1], vcc
	s_cbranch_execnz .LBB25_226
; %bb.217:
	s_or_b64 exec, exec, s[0:1]
	v_cmp_lt_i32_e32 vcc, v4, v8
	s_and_saveexec_b64 s[0:1], vcc
	s_cbranch_execnz .LBB25_227
.LBB25_218:
	s_or_b64 exec, exec, s[0:1]
	v_cmp_lt_i32_e32 vcc, v4, v8
	s_and_saveexec_b64 s[0:1], vcc
	s_cbranch_execnz .LBB25_228
.LBB25_219:
	s_or_b64 exec, exec, s[0:1]
	v_cmp_lt_i32_e32 vcc, v4, v8
	s_and_saveexec_b64 s[0:1], vcc
	s_cbranch_execnz .LBB25_229
.LBB25_220:
	s_or_b64 exec, exec, s[0:1]
	v_cmp_lt_i32_e32 vcc, v4, v8
	s_and_saveexec_b64 s[0:1], vcc
	s_cbranch_execnz .LBB25_230
	s_branch .LBB25_233
.LBB25_221:
	v_lshlrev_b32_e32 v5, 2, v4
	v_add_u32_e32 v4, 1, v4
	ds_write_b32 v5, v17 offset:19456
	s_or_b64 exec, exec, s[2:3]
	s_and_saveexec_b64 s[2:3], s[24:25]
	s_cbranch_execz .LBB25_172
.LBB25_222:
	v_lshlrev_b32_e32 v5, 2, v4
	v_add_u32_e32 v4, 1, v4
	ds_write_b32 v5, v27 offset:19456
	s_or_b64 exec, exec, s[2:3]
	s_and_saveexec_b64 s[2:3], s[22:23]
	s_cbranch_execz .LBB25_173
.LBB25_223:
	v_lshlrev_b32_e32 v5, 2, v4
	v_add_u32_e32 v4, 1, v4
	ds_write_b32 v5, v28 offset:19456
	s_or_b64 exec, exec, s[2:3]
	s_and_saveexec_b64 s[2:3], s[20:21]
	s_cbranch_execz .LBB25_174
.LBB25_224:
	v_lshlrev_b32_e32 v5, 2, v4
	v_add_u32_e32 v4, 1, v4
	ds_write_b32 v5, v29 offset:19456
	s_or_b64 exec, exec, s[2:3]
	s_and_saveexec_b64 s[2:3], s[18:19]
	s_cbranch_execz .LBB25_175
.LBB25_225:
	v_lshlrev_b32_e32 v5, 2, v4
	v_add_u32_e32 v4, 1, v4
	ds_write_b32 v5, v30 offset:19456
	s_or_b64 exec, exec, s[2:3]
	s_and_saveexec_b64 s[2:3], s[16:17]
	s_cbranch_execnz .LBB25_176
	s_branch .LBB25_177
.LBB25_226:
	s_movk_i32 s4, 0x1ff
	v_mul_lo_u32 v4, v0, s4
	v_ashrrev_i32_e32 v8, 9, v4
	v_lshlrev_b32_e32 v4, 2, v8
	ds_read_b32 v4, v4 offset:1024
	v_add_u32_e32 v9, 1, v8
	s_waitcnt lgkmcnt(0)
	v_cmp_lt_i32_e32 vcc, v4, v5
	v_cndmask_b32_e32 v4, 0, v9, vcc
	v_cndmask_b32_e32 v8, v8, v0, vcc
	s_or_b64 exec, exec, s[0:1]
	v_cmp_lt_i32_e32 vcc, v4, v8
	s_and_saveexec_b64 s[0:1], vcc
	s_cbranch_execz .LBB25_218
.LBB25_227:
	v_sub_u32_e32 v9, v4, v8
	v_lshl_add_u32 v9, v8, 7, v9
	v_ashrrev_i32_e32 v9, 7, v9
	v_lshlrev_b32_e32 v10, 2, v9
	ds_read_b32 v10, v10 offset:1024
	v_add_u32_e32 v11, 1, v9
	s_waitcnt lgkmcnt(0)
	v_cmp_lt_i32_e32 vcc, v10, v5
	v_cndmask_b32_e32 v4, v4, v11, vcc
	v_cndmask_b32_e32 v8, v9, v8, vcc
	s_or_b64 exec, exec, s[0:1]
	v_cmp_lt_i32_e32 vcc, v4, v8
	s_and_saveexec_b64 s[0:1], vcc
	s_cbranch_execz .LBB25_219
.LBB25_228:
	v_sub_u32_e32 v9, v4, v8
	v_lshl_add_u32 v9, v8, 5, v9
	v_ashrrev_i32_e32 v9, 5, v9
	v_lshlrev_b32_e32 v10, 2, v9
	ds_read_b32 v10, v10 offset:1024
	v_add_u32_e32 v11, 1, v9
	s_waitcnt lgkmcnt(0)
	v_cmp_lt_i32_e32 vcc, v10, v5
	v_cndmask_b32_e32 v4, v4, v11, vcc
	v_cndmask_b32_e32 v8, v9, v8, vcc
	s_or_b64 exec, exec, s[0:1]
	v_cmp_lt_i32_e32 vcc, v4, v8
	s_and_saveexec_b64 s[0:1], vcc
	s_cbranch_execz .LBB25_220
.LBB25_229:
	v_sub_u32_e32 v9, v4, v8
	v_lshl_add_u32 v9, v8, 4, v9
	v_ashrrev_i32_e32 v9, 4, v9
	v_lshlrev_b32_e32 v10, 2, v9
	ds_read_b32 v10, v10 offset:1024
	v_add_u32_e32 v11, 1, v9
	s_waitcnt lgkmcnt(0)
	v_cmp_lt_i32_e32 vcc, v10, v5
	v_cndmask_b32_e32 v4, v4, v11, vcc
	v_cndmask_b32_e32 v8, v9, v8, vcc
	s_or_b64 exec, exec, s[0:1]
	v_cmp_lt_i32_e32 vcc, v4, v8
	s_and_saveexec_b64 s[0:1], vcc
	s_cbranch_execz .LBB25_233
.LBB25_230:
	s_mov_b64 s[4:5], 0
.LBB25_231:                             ; =>This Inner Loop Header: Depth=1
	v_sub_u32_e32 v9, v4, v8
	v_lshl_add_u32 v9, v8, 1, v9
	v_ashrrev_i32_e32 v9, 1, v9
	v_lshlrev_b32_e32 v10, 2, v9
	ds_read_b32 v10, v10 offset:1024
	v_add_u32_e32 v11, 1, v9
	s_waitcnt lgkmcnt(0)
	v_cmp_lt_i32_e32 vcc, v10, v5
	v_cndmask_b32_e32 v4, v4, v11, vcc
	v_cndmask_b32_e32 v8, v9, v8, vcc
	v_cmp_ge_i32_e32 vcc, v4, v8
	s_or_b64 s[4:5], vcc, s[4:5]
	s_andn2_b64 exec, exec, s[4:5]
	s_cbranch_execnz .LBB25_231
; %bb.232:
	s_or_b64 exec, exec, s[4:5]
.LBB25_233:
	s_or_b64 exec, exec, s[0:1]
	v_add_u32_e32 v7, 0x400, v7
	v_cmp_lt_i32_e32 vcc, 0, v6
	v_mov_b32_e32 v8, 0
	v_mov_b32_e32 v9, v6
	s_and_saveexec_b64 s[0:1], vcc
	s_cbranch_execnz .LBB25_238
; %bb.234:
	s_or_b64 exec, exec, s[0:1]
	v_cmp_lt_i32_e32 vcc, v8, v9
	s_and_saveexec_b64 s[0:1], vcc
	s_cbranch_execnz .LBB25_239
.LBB25_235:
	s_or_b64 exec, exec, s[0:1]
	v_cmp_lt_i32_e32 vcc, v8, v9
	s_and_saveexec_b64 s[0:1], vcc
	s_cbranch_execnz .LBB25_240
.LBB25_236:
	s_or_b64 exec, exec, s[0:1]
	v_cmp_lt_i32_e32 vcc, v8, v9
	s_and_saveexec_b64 s[0:1], vcc
	s_cbranch_execnz .LBB25_241
.LBB25_237:
	s_or_b64 exec, exec, s[0:1]
	v_cmp_lt_i32_e32 vcc, v8, v9
	s_and_saveexec_b64 s[0:1], vcc
	s_cbranch_execnz .LBB25_242
	s_branch .LBB25_245
.LBB25_238:
	s_movk_i32 s4, 0x1ff
	v_mul_lo_u32 v8, v6, s4
	v_ashrrev_i32_e32 v9, 9, v8
	v_lshl_add_u32 v8, v9, 2, v3
	ds_read_b32 v8, v8 offset:1024
	v_add_u32_e32 v10, 1, v9
	s_waitcnt lgkmcnt(0)
	v_cmp_lt_i32_e32 vcc, v8, v5
	v_cndmask_b32_e32 v8, 0, v10, vcc
	v_cndmask_b32_e32 v9, v9, v6, vcc
	s_or_b64 exec, exec, s[0:1]
	v_cmp_lt_i32_e32 vcc, v8, v9
	s_and_saveexec_b64 s[0:1], vcc
	s_cbranch_execz .LBB25_235
.LBB25_239:
	v_sub_u32_e32 v10, v8, v9
	v_lshl_add_u32 v10, v9, 7, v10
	v_ashrrev_i32_e32 v10, 7, v10
	v_lshl_add_u32 v11, v10, 2, v3
	ds_read_b32 v11, v11 offset:1024
	v_add_u32_e32 v12, 1, v10
	s_waitcnt lgkmcnt(0)
	v_cmp_lt_i32_e32 vcc, v11, v5
	v_cndmask_b32_e32 v8, v8, v12, vcc
	v_cndmask_b32_e32 v9, v10, v9, vcc
	s_or_b64 exec, exec, s[0:1]
	v_cmp_lt_i32_e32 vcc, v8, v9
	s_and_saveexec_b64 s[0:1], vcc
	s_cbranch_execz .LBB25_236
.LBB25_240:
	v_sub_u32_e32 v10, v8, v9
	v_lshl_add_u32 v10, v9, 5, v10
	v_ashrrev_i32_e32 v10, 5, v10
	v_lshl_add_u32 v11, v10, 2, v3
	ds_read_b32 v11, v11 offset:1024
	v_add_u32_e32 v12, 1, v10
	s_waitcnt lgkmcnt(0)
	v_cmp_lt_i32_e32 vcc, v11, v5
	v_cndmask_b32_e32 v8, v8, v12, vcc
	v_cndmask_b32_e32 v9, v10, v9, vcc
	s_or_b64 exec, exec, s[0:1]
	v_cmp_lt_i32_e32 vcc, v8, v9
	s_and_saveexec_b64 s[0:1], vcc
	s_cbranch_execz .LBB25_237
.LBB25_241:
	v_sub_u32_e32 v10, v8, v9
	v_lshl_add_u32 v10, v9, 4, v10
	v_ashrrev_i32_e32 v10, 4, v10
	v_lshl_add_u32 v11, v10, 2, v3
	ds_read_b32 v11, v11 offset:1024
	v_add_u32_e32 v12, 1, v10
	s_waitcnt lgkmcnt(0)
	v_cmp_lt_i32_e32 vcc, v11, v5
	v_cndmask_b32_e32 v8, v8, v12, vcc
	v_cndmask_b32_e32 v9, v10, v9, vcc
	s_or_b64 exec, exec, s[0:1]
	v_cmp_lt_i32_e32 vcc, v8, v9
	s_and_saveexec_b64 s[0:1], vcc
	s_cbranch_execz .LBB25_245
.LBB25_242:
	v_add_u32_e32 v10, 0x400, v3
	s_mov_b64 s[4:5], 0
.LBB25_243:                             ; =>This Inner Loop Header: Depth=1
	v_sub_u32_e32 v11, v8, v9
	v_lshl_add_u32 v11, v9, 1, v11
	v_ashrrev_i32_e32 v11, 1, v11
	v_lshl_add_u32 v12, v11, 2, v10
	ds_read_b32 v12, v12
	v_add_u32_e32 v13, 1, v11
	s_waitcnt lgkmcnt(0)
	v_cmp_lt_i32_e32 vcc, v12, v5
	v_cndmask_b32_e32 v8, v8, v13, vcc
	v_cndmask_b32_e32 v9, v11, v9, vcc
	v_cmp_ge_i32_e32 vcc, v8, v9
	s_or_b64 s[4:5], vcc, s[4:5]
	s_andn2_b64 exec, exec, s[4:5]
	s_cbranch_execnz .LBB25_243
; %bb.244:
	s_or_b64 exec, exec, s[4:5]
.LBB25_245:
	s_or_b64 exec, exec, s[0:1]
	v_sub_u32_e32 v0, v0, v4
	v_sub_u32_e32 v10, v6, v8
	v_add_u32_e32 v9, v10, v0
	v_ashrrev_i32_e32 v0, 1, v9
	v_max_i32_e32 v0, v0, v10
	v_add3_u32 v8, v8, v0, 1
	v_min_i32_e32 v8, v8, v21
	v_sub_u32_e32 v8, v8, v6
	v_cmp_lt_i32_e32 vcc, 0, v8
	v_mov_b32_e32 v6, 0
	s_and_saveexec_b64 s[0:1], vcc
	s_cbranch_execz .LBB25_249
; %bb.246:
	s_mov_b64 s[4:5], 0
	v_mov_b32_e32 v6, 0
.LBB25_247:                             ; =>This Inner Loop Header: Depth=1
	v_add_u32_e32 v11, v6, v8
	v_ashrrev_i32_e32 v11, 1, v11
	v_lshl_add_u32 v12, v11, 2, v7
	ds_read_b32 v12, v12
	v_add_u32_e32 v13, 1, v11
	s_waitcnt lgkmcnt(0)
	v_cmp_gt_i32_e32 vcc, v12, v5
	v_cndmask_b32_e32 v6, v13, v6, vcc
	v_cndmask_b32_e32 v8, v8, v11, vcc
	v_cmp_ge_i32_e32 vcc, v6, v8
	s_or_b64 s[4:5], vcc, s[4:5]
	s_andn2_b64 exec, exec, s[4:5]
	s_cbranch_execnz .LBB25_247
; %bb.248:
	s_or_b64 exec, exec, s[4:5]
.LBB25_249:
	s_or_b64 exec, exec, s[0:1]
	s_waitcnt lgkmcnt(0)
	v_add_u32_e32 v5, v6, v10
	v_min_i32_e32 v6, v5, v0
	v_sub_u32_e32 v7, v9, v6
	v_add_u32_e32 v6, 1, v6
	v_cmp_eq_u32_e32 vcc, v7, v6
	v_cmp_lt_i32_e64 s[0:1], v0, v5
	s_and_b64 s[0:1], s[0:1], vcc
	v_cndmask_b32_e64 v5, 0, 1, s[0:1]
	v_add_u32_e32 v0, v7, v4
.LBB25_250:
	s_or_b64 exec, exec, s[2:3]
	v_add_u32_e32 v1, v5, v1
	v_sub_u32_e32 v4, v1, v0
	v_lshlrev_b32_e32 v5, 16, v20
	v_or_b32_e32 v5, v5, v21
	v_lshl_or_b32 v6, v0, 16, v4
	v_cmp_eq_u32_e64 s[0:1], 0, v16
	v_cndmask_b32_e64 v5, v6, v5, s[0:1]
	v_add_u32_e32 v6, -1, v16
	v_mov_b32_e32 v7, 0xff
	v_cndmask_b32_e64 v6, v6, v7, s[0:1]
	v_lshlrev_b32_e32 v6, 2, v6
	ds_write_b32 v6, v5
	v_lshl_add_u32 v6, v4, 2, v3
	s_waitcnt lgkmcnt(0)
	s_barrier
	v_lshlrev_b32_e32 v5, 2, v0
	ds_read_b32 v3, v2
	ds_read_b32 v21, v5 offset:1024
	ds_read_b32 v6, v6 offset:1024
	s_waitcnt lgkmcnt(2)
	v_cmp_le_i32_sdwa s[4:5], v3, v4 src0_sel:WORD_0 src1_sel:DWORD
	v_cmp_le_i32_sdwa s[6:7], sext(v3), v0 src0_sel:WORD_1 src1_sel:DWORD
	s_waitcnt lgkmcnt(0)
	v_cmp_lt_i32_e32 vcc, v6, v21
	v_cndmask_b32_e64 v2, 0, 1, vcc
	v_cndmask_b32_e64 v7, 0, 1, s[6:7]
	s_or_b64 vcc, s[6:7], s[4:5]
	v_cndmask_b32_e32 v2, v2, v7, vcc
	v_and_b32_e32 v2, 1, v2
	v_cmp_eq_u32_e64 s[2:3], 1, v2
	s_xor_b64 s[10:11], s[2:3], -1
	v_mov_b32_e32 v23, v21
	s_and_saveexec_b64 s[2:3], s[10:11]
	s_cbranch_execz .LBB25_252
; %bb.251:
	ds_read_b32 v23, v5 offset:1028
	v_add_u32_e32 v0, 1, v0
.LBB25_252:
	s_or_b64 exec, exec, s[2:3]
	s_xor_b64 s[6:7], s[6:7], -1
	v_cmp_lt_i32_e64 s[2:3], v21, v6
	v_add_u32_e32 v2, v4, v20
	v_cndmask_b32_e64 v4, 0, 1, s[2:3]
	s_and_b64 s[2:3], s[4:5], s[6:7]
	v_cndmask_b32_e64 v5, 0, 1, s[2:3]
	v_cndmask_b32_e32 v4, v4, v5, vcc
	v_and_b32_e32 v4, 1, v4
	v_cmp_eq_u32_e32 vcc, 1, v4
	s_xor_b64 s[4:5], vcc, -1
	s_and_saveexec_b64 s[2:3], s[4:5]
	s_cbranch_execz .LBB25_254
; %bb.253:
	v_lshlrev_b32_e32 v4, 2, v2
	ds_read_b32 v6, v4 offset:1028
	v_add_u32_e32 v2, 1, v2
.LBB25_254:
	s_or_b64 exec, exec, s[2:3]
	v_add_u32_sdwa v7, v3, v20 dst_sel:DWORD dst_unused:UNUSED_PAD src0_sel:WORD_0 src1_sel:DWORD
	v_cmp_ge_i32_e64 s[2:3], v2, v7
	v_cmp_ge_i32_sdwa s[6:7], v0, sext(v3) src0_sel:DWORD src1_sel:WORD_1
	s_waitcnt lgkmcnt(0)
	v_cmp_lt_i32_e64 s[4:5], v6, v23
	v_cndmask_b32_e64 v4, 0, 1, s[6:7]
	v_cndmask_b32_e64 v5, 0, 1, s[4:5]
	s_or_b64 s[4:5], s[6:7], s[2:3]
	v_cndmask_b32_e64 v4, v5, v4, s[4:5]
	v_and_b32_e32 v4, 1, v4
	v_cmp_eq_u32_e64 s[4:5], 1, v4
	s_xor_b64 s[10:11], s[4:5], -1
	v_mov_b32_e32 v24, v23
	v_mov_b32_e32 v4, v0
	s_and_saveexec_b64 s[4:5], s[10:11]
	s_cbranch_execz .LBB25_256
; %bb.255:
	v_lshlrev_b32_e32 v4, 2, v0
	ds_read_b32 v24, v4 offset:1028
	v_add_u32_e32 v4, 1, v0
.LBB25_256:
	s_or_b64 exec, exec, s[4:5]
	v_cmp_lt_i32_e64 s[4:5], v23, v6
	s_or_b64 s[2:3], s[2:3], s[4:5]
	s_xor_b64 s[4:5], s[6:7], -1
	s_and_b64 s[6:7], s[4:5], s[2:3]
	s_xor_b64 s[4:5], s[6:7], -1
	v_mov_b32_e32 v5, v2
	s_and_saveexec_b64 s[2:3], s[4:5]
	s_cbranch_execz .LBB25_258
; %bb.257:
	v_lshlrev_b32_e32 v5, 2, v2
	ds_read_b32 v6, v5 offset:1028
	v_add_u32_e32 v5, 1, v2
.LBB25_258:
	s_or_b64 exec, exec, s[2:3]
	v_cmp_ge_i32_e64 s[2:3], v5, v7
	v_cmp_ge_i32_sdwa s[10:11], v4, sext(v3) src0_sel:DWORD src1_sel:WORD_1
	s_waitcnt lgkmcnt(0)
	v_cmp_lt_i32_e64 s[4:5], v6, v24
	v_cndmask_b32_e64 v8, 0, 1, s[10:11]
	v_cndmask_b32_e64 v9, 0, 1, s[4:5]
	s_or_b64 s[4:5], s[10:11], s[2:3]
	v_cndmask_b32_e64 v8, v9, v8, s[4:5]
	v_and_b32_e32 v8, 1, v8
	v_cmp_eq_u32_e64 s[4:5], 1, v8
	s_xor_b64 s[16:17], s[4:5], -1
	v_mov_b32_e32 v25, v24
	v_mov_b32_e32 v8, v4
	s_and_saveexec_b64 s[4:5], s[16:17]
	s_cbranch_execz .LBB25_260
; %bb.259:
	v_lshlrev_b32_e32 v8, 2, v4
	ds_read_b32 v25, v8 offset:1028
	v_add_u32_e32 v8, 1, v4
.LBB25_260:
	s_or_b64 exec, exec, s[4:5]
	v_cmp_lt_i32_e64 s[4:5], v24, v6
	s_or_b64 s[2:3], s[2:3], s[4:5]
	s_xor_b64 s[4:5], s[10:11], -1
	s_and_b64 s[20:21], s[4:5], s[2:3]
	s_xor_b64 s[4:5], s[20:21], -1
	v_mov_b32_e32 v9, v5
	s_and_saveexec_b64 s[2:3], s[4:5]
	s_cbranch_execz .LBB25_262
; %bb.261:
	v_lshlrev_b32_e32 v6, 2, v5
	ds_read_b32 v6, v6 offset:1028
	v_add_u32_e32 v9, 1, v5
.LBB25_262:
	s_or_b64 exec, exec, s[2:3]
	v_cmp_ge_i32_e64 s[2:3], v9, v7
	v_cmp_ge_i32_sdwa s[10:11], v8, sext(v3) src0_sel:DWORD src1_sel:WORD_1
	s_waitcnt lgkmcnt(0)
	v_cmp_lt_i32_e64 s[4:5], v6, v25
	v_cndmask_b32_e64 v10, 0, 1, s[10:11]
	v_cndmask_b32_e64 v11, 0, 1, s[4:5]
	s_or_b64 s[4:5], s[10:11], s[2:3]
	v_cndmask_b32_e64 v10, v11, v10, s[4:5]
	v_and_b32_e32 v10, 1, v10
	v_cmp_eq_u32_e64 s[4:5], 1, v10
	s_xor_b64 s[16:17], s[4:5], -1
	v_mov_b32_e32 v26, v25
	v_mov_b32_e32 v10, v8
	s_and_saveexec_b64 s[4:5], s[16:17]
	s_cbranch_execz .LBB25_264
; %bb.263:
	v_lshlrev_b32_e32 v10, 2, v8
	ds_read_b32 v26, v10 offset:1028
	v_add_u32_e32 v10, 1, v8
.LBB25_264:
	s_or_b64 exec, exec, s[4:5]
	v_cmp_lt_i32_e64 s[4:5], v25, v6
	s_or_b64 s[2:3], s[2:3], s[4:5]
	s_xor_b64 s[4:5], s[10:11], -1
	s_and_b64 s[18:19], s[4:5], s[2:3]
	s_xor_b64 s[4:5], s[18:19], -1
	v_mov_b32_e32 v11, v9
	s_and_saveexec_b64 s[2:3], s[4:5]
	s_cbranch_execz .LBB25_266
; %bb.265:
	v_lshlrev_b32_e32 v6, 2, v9
	ds_read_b32 v6, v6 offset:1028
	v_add_u32_e32 v11, 1, v9
.LBB25_266:
	s_or_b64 exec, exec, s[2:3]
	v_cmp_ge_i32_e64 s[2:3], v11, v7
	v_cmp_ge_i32_sdwa s[10:11], v10, sext(v3) src0_sel:DWORD src1_sel:WORD_1
	s_waitcnt lgkmcnt(0)
	v_cmp_lt_i32_e64 s[4:5], v6, v26
	v_cndmask_b32_e64 v12, 0, 1, s[10:11]
	v_cndmask_b32_e64 v13, 0, 1, s[4:5]
	s_or_b64 s[4:5], s[10:11], s[2:3]
	v_cndmask_b32_e64 v12, v13, v12, s[4:5]
	v_and_b32_e32 v12, 1, v12
	v_cmp_eq_u32_e64 s[4:5], 1, v12
	s_xor_b64 s[16:17], s[4:5], -1
	v_mov_b32_e32 v27, v26
	v_mov_b32_e32 v12, v10
	s_and_saveexec_b64 s[4:5], s[16:17]
	s_cbranch_execz .LBB25_268
; %bb.267:
	v_lshlrev_b32_e32 v12, 2, v10
	ds_read_b32 v27, v12 offset:1028
	v_add_u32_e32 v12, 1, v10
.LBB25_268:
	s_or_b64 exec, exec, s[4:5]
	v_cmp_lt_i32_e64 s[4:5], v26, v6
	s_or_b64 s[2:3], s[2:3], s[4:5]
	s_xor_b64 s[4:5], s[10:11], -1
	s_and_b64 s[16:17], s[4:5], s[2:3]
	s_xor_b64 s[4:5], s[16:17], -1
	v_mov_b32_e32 v13, v11
	s_and_saveexec_b64 s[2:3], s[4:5]
	s_cbranch_execz .LBB25_270
; %bb.269:
	v_lshlrev_b32_e32 v6, 2, v11
	ds_read_b32 v6, v6 offset:1028
	v_add_u32_e32 v13, 1, v11
.LBB25_270:
	s_or_b64 exec, exec, s[2:3]
	v_cmp_ge_i32_e64 s[2:3], v13, v7
	v_cmp_ge_i32_sdwa s[10:11], v12, sext(v3) src0_sel:DWORD src1_sel:WORD_1
	s_waitcnt lgkmcnt(0)
	v_cmp_lt_i32_e64 s[4:5], v6, v27
	v_cndmask_b32_e64 v14, 0, 1, s[10:11]
	v_cndmask_b32_e64 v15, 0, 1, s[4:5]
	s_or_b64 s[4:5], s[10:11], s[2:3]
	v_cndmask_b32_e64 v14, v15, v14, s[4:5]
	v_and_b32_e32 v14, 1, v14
	v_cmp_eq_u32_e64 s[4:5], 1, v14
	s_xor_b64 s[22:23], s[4:5], -1
	v_mov_b32_e32 v28, v27
	v_mov_b32_e32 v14, v12
	s_and_saveexec_b64 s[4:5], s[22:23]
	s_cbranch_execz .LBB25_272
; %bb.271:
	v_lshlrev_b32_e32 v14, 2, v12
	ds_read_b32 v28, v14 offset:1028
	v_add_u32_e32 v14, 1, v12
.LBB25_272:
	s_or_b64 exec, exec, s[4:5]
	v_cmp_lt_i32_e64 s[4:5], v27, v6
	s_or_b64 s[2:3], s[2:3], s[4:5]
	s_xor_b64 s[4:5], s[10:11], -1
	s_and_b64 s[10:11], s[4:5], s[2:3]
	s_xor_b64 s[4:5], s[10:11], -1
	v_mov_b32_e32 v15, v13
	s_and_saveexec_b64 s[2:3], s[4:5]
	s_cbranch_execz .LBB25_274
; %bb.273:
	v_lshlrev_b32_e32 v6, 2, v13
	ds_read_b32 v6, v6 offset:1028
	v_add_u32_e32 v15, 1, v13
.LBB25_274:
	s_or_b64 exec, exec, s[2:3]
	v_cmp_ge_i32_e64 s[2:3], v15, v7
	v_cmp_ge_i32_sdwa s[22:23], v14, sext(v3) src0_sel:DWORD src1_sel:WORD_1
	s_waitcnt lgkmcnt(0)
	v_cmp_lt_i32_e64 s[4:5], v6, v28
	v_cndmask_b32_e64 v18, 0, 1, s[22:23]
	v_cndmask_b32_e64 v19, 0, 1, s[4:5]
	s_or_b64 s[4:5], s[22:23], s[2:3]
	v_cndmask_b32_e64 v18, v19, v18, s[4:5]
	v_and_b32_e32 v18, 1, v18
	v_cmp_eq_u32_e64 s[4:5], 1, v18
	s_xor_b64 s[24:25], s[4:5], -1
	v_mov_b32_e32 v29, v28
	v_mov_b32_e32 v18, v14
	s_and_saveexec_b64 s[4:5], s[24:25]
	s_cbranch_execz .LBB25_276
; %bb.275:
	v_lshlrev_b32_e32 v18, 2, v14
	ds_read_b32 v29, v18 offset:1028
	v_add_u32_e32 v18, 1, v14
.LBB25_276:
	s_or_b64 exec, exec, s[4:5]
	v_cmp_lt_i32_e64 s[4:5], v28, v6
	s_or_b64 s[2:3], s[2:3], s[4:5]
	s_xor_b64 s[4:5], s[22:23], -1
	s_and_b64 s[22:23], s[4:5], s[2:3]
	s_xor_b64 s[4:5], s[22:23], -1
	v_mov_b32_e32 v19, v15
	s_and_saveexec_b64 s[2:3], s[4:5]
	s_cbranch_execz .LBB25_278
; %bb.277:
	v_lshlrev_b32_e32 v6, 2, v15
	ds_read_b32 v6, v6 offset:1028
	v_add_u32_e32 v19, 1, v15
.LBB25_278:
	s_or_b64 exec, exec, s[2:3]
	v_cmp_ge_i32_e64 s[2:3], v19, v7
	v_cmp_ge_i32_sdwa s[24:25], v18, sext(v3) src0_sel:DWORD src1_sel:WORD_1
	s_waitcnt lgkmcnt(0)
	v_cmp_lt_i32_e64 s[4:5], v6, v29
	v_cndmask_b32_e64 v30, 0, 1, s[24:25]
	v_cndmask_b32_e64 v31, 0, 1, s[4:5]
	s_or_b64 s[4:5], s[24:25], s[2:3]
	v_cndmask_b32_e64 v30, v31, v30, s[4:5]
	v_and_b32_e32 v30, 1, v30
	v_cmp_eq_u32_e64 s[4:5], 1, v30
	s_xor_b64 s[26:27], s[4:5], -1
	v_mov_b32_e32 v30, v29
	v_mov_b32_e32 v38, v18
	s_and_saveexec_b64 s[4:5], s[26:27]
	s_cbranch_execz .LBB25_280
; %bb.279:
	v_lshlrev_b32_e32 v30, 2, v18
	ds_read_b32 v30, v30 offset:1028
	v_add_u32_e32 v38, 1, v18
.LBB25_280:
	s_or_b64 exec, exec, s[4:5]
	v_cmp_lt_i32_e64 s[4:5], v29, v6
	s_or_b64 s[2:3], s[2:3], s[4:5]
	s_xor_b64 s[4:5], s[24:25], -1
	s_and_b64 s[24:25], s[4:5], s[2:3]
	s_xor_b64 s[4:5], s[24:25], -1
	v_mov_b32_e32 v39, v19
	s_and_saveexec_b64 s[2:3], s[4:5]
	s_cbranch_execz .LBB25_282
; %bb.281:
	v_lshlrev_b32_e32 v6, 2, v19
	ds_read_b32 v6, v6 offset:1028
	v_add_u32_e32 v39, 1, v19
.LBB25_282:
	s_or_b64 exec, exec, s[2:3]
	v_cmp_ge_i32_e64 s[2:3], v39, v7
	v_cmp_ge_i32_sdwa s[26:27], v38, sext(v3) src0_sel:DWORD src1_sel:WORD_1
	s_waitcnt lgkmcnt(0)
	v_cmp_lt_i32_e64 s[4:5], v6, v30
	v_cndmask_b32_e64 v31, 0, 1, s[26:27]
	v_cndmask_b32_e64 v32, 0, 1, s[4:5]
	s_or_b64 s[4:5], s[26:27], s[2:3]
	v_cndmask_b32_e64 v31, v32, v31, s[4:5]
	v_and_b32_e32 v31, 1, v31
	v_cmp_eq_u32_e64 s[4:5], 1, v31
	s_xor_b64 s[28:29], s[4:5], -1
	v_mov_b32_e32 v31, v30
	v_mov_b32_e32 v40, v38
	s_and_saveexec_b64 s[4:5], s[28:29]
	s_cbranch_execz .LBB25_284
; %bb.283:
	v_lshlrev_b32_e32 v31, 2, v38
	ds_read_b32 v31, v31 offset:1028
	v_add_u32_e32 v40, 1, v38
.LBB25_284:
	s_or_b64 exec, exec, s[4:5]
	v_cmp_lt_i32_e64 s[4:5], v30, v6
	s_or_b64 s[2:3], s[2:3], s[4:5]
	s_xor_b64 s[4:5], s[26:27], -1
	s_and_b64 s[26:27], s[4:5], s[2:3]
	s_xor_b64 s[4:5], s[26:27], -1
	v_mov_b32_e32 v41, v39
	s_and_saveexec_b64 s[2:3], s[4:5]
	s_cbranch_execz .LBB25_286
; %bb.285:
	v_lshlrev_b32_e32 v6, 2, v39
	ds_read_b32 v6, v6 offset:1028
	v_add_u32_e32 v41, 1, v39
.LBB25_286:
	s_or_b64 exec, exec, s[2:3]
	v_cmp_ge_i32_e64 s[2:3], v41, v7
	v_cmp_ge_i32_sdwa s[28:29], v40, sext(v3) src0_sel:DWORD src1_sel:WORD_1
	s_waitcnt lgkmcnt(0)
	v_cmp_lt_i32_e64 s[4:5], v6, v31
	v_cndmask_b32_e64 v32, 0, 1, s[28:29]
	v_cndmask_b32_e64 v33, 0, 1, s[4:5]
	s_or_b64 s[4:5], s[28:29], s[2:3]
	v_cndmask_b32_e64 v32, v33, v32, s[4:5]
	v_and_b32_e32 v32, 1, v32
	v_cmp_eq_u32_e64 s[4:5], 1, v32
	s_xor_b64 s[30:31], s[4:5], -1
	v_mov_b32_e32 v32, v31
	v_mov_b32_e32 v42, v40
	s_and_saveexec_b64 s[4:5], s[30:31]
	s_cbranch_execz .LBB25_288
; %bb.287:
	v_lshlrev_b32_e32 v32, 2, v40
	ds_read_b32 v32, v32 offset:1028
	v_add_u32_e32 v42, 1, v40
.LBB25_288:
	s_or_b64 exec, exec, s[4:5]
	v_cmp_lt_i32_e64 s[4:5], v31, v6
	s_or_b64 s[2:3], s[2:3], s[4:5]
	s_xor_b64 s[4:5], s[28:29], -1
	s_and_b64 s[28:29], s[4:5], s[2:3]
	s_xor_b64 s[4:5], s[28:29], -1
	v_mov_b32_e32 v43, v41
	s_and_saveexec_b64 s[2:3], s[4:5]
	s_cbranch_execz .LBB25_290
; %bb.289:
	v_lshlrev_b32_e32 v6, 2, v41
	ds_read_b32 v6, v6 offset:1028
	v_add_u32_e32 v43, 1, v41
.LBB25_290:
	s_or_b64 exec, exec, s[2:3]
	v_cmp_ge_i32_e64 s[2:3], v43, v7
	v_cmp_ge_i32_sdwa s[30:31], v42, sext(v3) src0_sel:DWORD src1_sel:WORD_1
	s_waitcnt lgkmcnt(0)
	v_cmp_lt_i32_e64 s[4:5], v6, v32
	v_cndmask_b32_e64 v33, 0, 1, s[30:31]
	v_cndmask_b32_e64 v34, 0, 1, s[4:5]
	s_or_b64 s[4:5], s[30:31], s[2:3]
	v_cndmask_b32_e64 v33, v34, v33, s[4:5]
	v_and_b32_e32 v33, 1, v33
	v_cmp_eq_u32_e64 s[4:5], 1, v33
	s_xor_b64 s[34:35], s[4:5], -1
	v_mov_b32_e32 v33, v32
	v_mov_b32_e32 v44, v42
	s_and_saveexec_b64 s[4:5], s[34:35]
	s_cbranch_execz .LBB25_292
; %bb.291:
	v_lshlrev_b32_e32 v33, 2, v42
	ds_read_b32 v33, v33 offset:1028
	v_add_u32_e32 v44, 1, v42
.LBB25_292:
	s_or_b64 exec, exec, s[4:5]
	v_cmp_lt_i32_e64 s[4:5], v32, v6
	s_or_b64 s[2:3], s[2:3], s[4:5]
	s_xor_b64 s[4:5], s[30:31], -1
	s_and_b64 s[30:31], s[4:5], s[2:3]
	s_xor_b64 s[4:5], s[30:31], -1
	v_mov_b32_e32 v45, v43
	s_and_saveexec_b64 s[2:3], s[4:5]
	s_cbranch_execz .LBB25_294
; %bb.293:
	v_lshlrev_b32_e32 v6, 2, v43
	ds_read_b32 v6, v6 offset:1028
	v_add_u32_e32 v45, 1, v43
.LBB25_294:
	s_or_b64 exec, exec, s[2:3]
	v_cmp_ge_i32_e64 s[2:3], v45, v7
	v_cmp_ge_i32_sdwa s[34:35], v44, sext(v3) src0_sel:DWORD src1_sel:WORD_1
	s_waitcnt lgkmcnt(0)
	v_cmp_lt_i32_e64 s[4:5], v6, v33
	v_cndmask_b32_e64 v34, 0, 1, s[34:35]
	v_cndmask_b32_e64 v35, 0, 1, s[4:5]
	s_or_b64 s[4:5], s[34:35], s[2:3]
	v_cndmask_b32_e64 v34, v35, v34, s[4:5]
	v_and_b32_e32 v34, 1, v34
	v_cmp_eq_u32_e64 s[4:5], 1, v34
	s_xor_b64 s[36:37], s[4:5], -1
	v_mov_b32_e32 v34, v33
	v_mov_b32_e32 v46, v44
	s_and_saveexec_b64 s[4:5], s[36:37]
	s_cbranch_execz .LBB25_296
; %bb.295:
	v_lshlrev_b32_e32 v34, 2, v44
	ds_read_b32 v34, v34 offset:1028
	v_add_u32_e32 v46, 1, v44
.LBB25_296:
	s_or_b64 exec, exec, s[4:5]
	v_cmp_lt_i32_e64 s[4:5], v33, v6
	s_or_b64 s[2:3], s[2:3], s[4:5]
	s_xor_b64 s[4:5], s[34:35], -1
	s_and_b64 s[34:35], s[4:5], s[2:3]
	s_xor_b64 s[4:5], s[34:35], -1
	v_mov_b32_e32 v47, v45
	s_and_saveexec_b64 s[2:3], s[4:5]
	s_cbranch_execz .LBB25_298
; %bb.297:
	v_lshlrev_b32_e32 v6, 2, v45
	ds_read_b32 v6, v6 offset:1028
	v_add_u32_e32 v47, 1, v45
.LBB25_298:
	s_or_b64 exec, exec, s[2:3]
	v_cmp_ge_i32_e64 s[2:3], v47, v7
	v_cmp_ge_i32_sdwa s[36:37], v46, sext(v3) src0_sel:DWORD src1_sel:WORD_1
	s_waitcnt lgkmcnt(0)
	v_cmp_lt_i32_e64 s[4:5], v6, v34
	v_cndmask_b32_e64 v35, 0, 1, s[36:37]
	v_cndmask_b32_e64 v36, 0, 1, s[4:5]
	s_or_b64 s[4:5], s[36:37], s[2:3]
	v_cndmask_b32_e64 v35, v36, v35, s[4:5]
	v_and_b32_e32 v35, 1, v35
	v_cmp_eq_u32_e64 s[4:5], 1, v35
	s_xor_b64 s[38:39], s[4:5], -1
	v_mov_b32_e32 v35, v34
	v_mov_b32_e32 v48, v46
	s_and_saveexec_b64 s[4:5], s[38:39]
	s_cbranch_execz .LBB25_300
; %bb.299:
	v_lshlrev_b32_e32 v35, 2, v46
	ds_read_b32 v35, v35 offset:1028
	v_add_u32_e32 v48, 1, v46
.LBB25_300:
	s_or_b64 exec, exec, s[4:5]
	v_cmp_lt_i32_e64 s[4:5], v34, v6
	s_or_b64 s[2:3], s[2:3], s[4:5]
	s_xor_b64 s[4:5], s[36:37], -1
	s_and_b64 s[36:37], s[4:5], s[2:3]
	s_xor_b64 s[4:5], s[36:37], -1
	v_mov_b32_e32 v49, v47
	s_and_saveexec_b64 s[2:3], s[4:5]
	s_cbranch_execz .LBB25_302
; %bb.301:
	v_lshlrev_b32_e32 v6, 2, v47
	ds_read_b32 v6, v6 offset:1028
	v_add_u32_e32 v49, 1, v47
.LBB25_302:
	s_or_b64 exec, exec, s[2:3]
	v_cmp_ge_i32_e64 s[2:3], v49, v7
	v_cmp_ge_i32_sdwa s[38:39], v48, sext(v3) src0_sel:DWORD src1_sel:WORD_1
	s_waitcnt lgkmcnt(0)
	v_cmp_lt_i32_e64 s[4:5], v6, v35
	v_cndmask_b32_e64 v36, 0, 1, s[38:39]
	v_cndmask_b32_e64 v37, 0, 1, s[4:5]
	s_or_b64 s[4:5], s[38:39], s[2:3]
	v_cndmask_b32_e64 v36, v37, v36, s[4:5]
	v_and_b32_e32 v36, 1, v36
	v_cmp_eq_u32_e64 s[4:5], 1, v36
	s_xor_b64 s[40:41], s[4:5], -1
	v_mov_b32_e32 v36, v35
	v_mov_b32_e32 v50, v48
	s_and_saveexec_b64 s[4:5], s[40:41]
	s_cbranch_execz .LBB25_304
; %bb.303:
	v_lshlrev_b32_e32 v36, 2, v48
	ds_read_b32 v36, v36 offset:1028
	v_add_u32_e32 v50, 1, v48
.LBB25_304:
	s_or_b64 exec, exec, s[4:5]
	v_cmp_lt_i32_e64 s[4:5], v35, v6
	s_or_b64 s[2:3], s[2:3], s[4:5]
	s_xor_b64 s[4:5], s[38:39], -1
	s_and_b64 s[38:39], s[4:5], s[2:3]
	s_xor_b64 s[4:5], s[38:39], -1
	v_mov_b32_e32 v51, v49
	s_and_saveexec_b64 s[2:3], s[4:5]
	s_cbranch_execz .LBB25_306
; %bb.305:
	v_lshlrev_b32_e32 v6, 2, v49
	ds_read_b32 v6, v6 offset:1028
	v_add_u32_e32 v51, 1, v49
.LBB25_306:
	s_or_b64 exec, exec, s[2:3]
	v_cmp_ge_i32_e64 s[2:3], v51, v7
	v_cmp_ge_i32_sdwa s[40:41], v50, sext(v3) src0_sel:DWORD src1_sel:WORD_1
	s_waitcnt lgkmcnt(0)
	v_cmp_lt_i32_e64 s[4:5], v6, v36
	v_cndmask_b32_e64 v37, 0, 1, s[40:41]
	v_cndmask_b32_e64 v52, 0, 1, s[4:5]
	s_or_b64 s[4:5], s[40:41], s[2:3]
	v_cndmask_b32_e64 v37, v52, v37, s[4:5]
	v_and_b32_e32 v37, 1, v37
	v_cmp_eq_u32_e64 s[4:5], 1, v37
	s_xor_b64 s[42:43], s[4:5], -1
	v_mov_b32_e32 v37, v36
	v_mov_b32_e32 v52, v50
	s_and_saveexec_b64 s[4:5], s[42:43]
	s_cbranch_execz .LBB25_308
; %bb.307:
	v_lshlrev_b32_e32 v37, 2, v50
	ds_read_b32 v37, v37 offset:1028
	v_add_u32_e32 v52, 1, v50
.LBB25_308:
	s_or_b64 exec, exec, s[4:5]
	v_cmp_lt_i32_e64 s[4:5], v36, v6
	s_or_b64 s[2:3], s[2:3], s[4:5]
	s_xor_b64 s[4:5], s[40:41], -1
	s_and_b64 s[40:41], s[4:5], s[2:3]
	s_xor_b64 s[4:5], s[40:41], -1
	v_mov_b32_e32 v53, v51
	s_and_saveexec_b64 s[2:3], s[4:5]
	s_cbranch_execz .LBB25_310
; %bb.309:
	v_lshlrev_b32_e32 v6, 2, v51
	ds_read_b32 v6, v6 offset:1028
	v_add_u32_e32 v53, 1, v51
.LBB25_310:
	s_or_b64 exec, exec, s[2:3]
	v_cmp_ge_i32_e64 s[2:3], v53, v7
	s_waitcnt lgkmcnt(0)
	v_cmp_lt_i32_e64 s[4:5], v37, v6
	v_cmp_lt_i32_sdwa s[42:43], v52, sext(v3) src0_sel:DWORD src1_sel:WORD_1
	s_or_b64 s[2:3], s[2:3], s[4:5]
	v_add_u32_e32 v6, v53, v52
	v_add_u32_sdwa v3, v7, sext(v3) dst_sel:DWORD dst_unused:UNUSED_PAD src0_sel:DWORD src1_sel:WORD_1
	s_and_b64 s[4:5], s[42:43], s[2:3]
	v_cmp_lt_i32_e64 s[2:3], v6, v3
	v_mov_b32_e32 v6, 0x8000
	s_and_b64 s[2:3], s[2:3], s[4:5]
	v_add_u32_e32 v7, v51, v50
	v_cndmask_b32_e64 v6, 0, v6, s[2:3]
	v_cmp_lt_i32_e64 s[2:3], v7, v3
	v_mov_b32_e32 v7, 0x4000
	s_and_b64 s[2:3], s[2:3], s[40:41]
	v_add_u32_e32 v48, v49, v48
	v_cndmask_b32_e64 v7, 0, v7, s[2:3]
	;; [unrolled: 5-line block ×9, first 2 shown]
	v_cmp_lt_i32_e64 s[2:3], v14, v3
	s_and_b64 s[2:3], s[2:3], s[22:23]
	v_add_u32_e32 v12, v13, v12
	v_cndmask_b32_e64 v14, 0, 64, s[2:3]
	v_cmp_lt_i32_e64 s[2:3], v12, v3
	v_add_u32_e32 v10, v11, v10
	s_and_b64 s[10:11], s[2:3], s[10:11]
	v_cmp_lt_i32_e64 s[2:3], v10, v3
	v_add_u32_e32 v8, v9, v8
	s_and_b64 s[16:17], s[2:3], s[16:17]
	;; [unrolled: 3-line block ×5, first 2 shown]
	v_cmp_lt_i32_e64 s[2:3], v1, v3
	s_and_b64 s[24:25], s[2:3], vcc
	v_cndmask_b32_e64 v4, 0, 4, s[20:21]
	v_cndmask_b32_e64 v0, 0, 2, s[22:23]
	;; [unrolled: 1-line block ×5, first 2 shown]
	v_or3_b32 v0, v0, v1, v4
	v_cndmask_b32_e64 v12, 0, 32, s[10:11]
	v_or3_b32 v0, v0, v8, v10
	v_or3_b32 v42, v0, v12, v14
	v_or_b32_e32 v41, v18, v42
	v_or3_b32 v40, v38, v40, v41
	v_or3_b32 v39, v43, v44, v40
	;; [unrolled: 1-line block ×4, first 2 shown]
	v_bcnt_u32_b32 v8, v20, 0
	v_mov_b32_e32 v9, 0
	s_cmp_lg_u32 s14, 0
	v_mbcnt_lo_u32_b32 v43, -1, 0
	s_barrier
	s_cbranch_scc0 .LBB25_339
; %bb.311:
	v_mov_b32_dpp v1, v8 row_shr:1 row_mask:0xf bank_mask:0xf
	v_add_co_u32_e32 v1, vcc, v1, v8
	v_mbcnt_hi_u32_b32 v18, -1, v43
	v_mov_b32_dpp v2, v9 row_shr:1 row_mask:0xf bank_mask:0xf
	v_addc_co_u32_e64 v3, s[2:3], 0, 0, vcc
	v_add_co_u32_e32 v4, vcc, 0, v1
	v_and_b32_e32 v0, 15, v18
	v_addc_co_u32_e32 v2, vcc, v2, v3, vcc
	v_cmp_eq_u32_e32 vcc, 0, v0
	v_cndmask_b32_e32 v1, v1, v8, vcc
	v_cndmask_b32_e64 v2, v2, 0, vcc
	v_cndmask_b32_e32 v3, v4, v8, vcc
	v_mov_b32_dpp v4, v1 row_shr:2 row_mask:0xf bank_mask:0xf
	v_mov_b32_dpp v5, v2 row_shr:2 row_mask:0xf bank_mask:0xf
	v_add_co_u32_e32 v4, vcc, v4, v3
	v_addc_co_u32_e32 v5, vcc, v5, v2, vcc
	v_cmp_lt_u32_e32 vcc, 1, v0
	v_cndmask_b32_e32 v1, v1, v4, vcc
	v_cndmask_b32_e32 v2, v2, v5, vcc
	v_cndmask_b32_e32 v3, v3, v4, vcc
	v_mov_b32_dpp v4, v1 row_shr:4 row_mask:0xf bank_mask:0xf
	v_mov_b32_dpp v5, v2 row_shr:4 row_mask:0xf bank_mask:0xf
	v_add_co_u32_e32 v4, vcc, v4, v3
	v_addc_co_u32_e32 v5, vcc, v5, v2, vcc
	v_cmp_lt_u32_e32 vcc, 3, v0
	v_cndmask_b32_e32 v1, v1, v4, vcc
	v_cndmask_b32_e32 v2, v2, v5, vcc
	;; [unrolled: 8-line block ×3, first 2 shown]
	v_cndmask_b32_e32 v2, v4, v6, vcc
	v_mov_b32_dpp v1, v0 row_bcast:15 row_mask:0xf bank_mask:0xf
	v_mov_b32_dpp v5, v3 row_bcast:15 row_mask:0xf bank_mask:0xf
	v_add_co_u32_e32 v4, vcc, v1, v2
	v_and_b32_e32 v7, 16, v18
	v_addc_co_u32_e32 v6, vcc, v5, v3, vcc
	v_cmp_eq_u32_e32 vcc, 0, v7
	v_cndmask_b32_e32 v1, v6, v3, vcc
	v_cndmask_b32_e32 v0, v4, v0, vcc
	v_cmp_eq_u32_e64 s[2:3], 0, v18
	v_mov_b32_dpp v7, v1 row_bcast:31 row_mask:0xf bank_mask:0xf
	v_mov_b32_dpp v5, v0 row_bcast:31 row_mask:0xf bank_mask:0xf
	v_cmp_ne_u32_e64 s[4:5], 0, v18
	v_pk_mov_b32 v[0:1], v[8:9], v[8:9] op_sel:[0,1]
	s_and_saveexec_b64 s[6:7], s[4:5]
; %bb.312:
	v_cndmask_b32_e32 v1, v6, v3, vcc
	v_cndmask_b32_e32 v0, v4, v2, vcc
	v_cmp_lt_u32_e32 vcc, 31, v18
	v_cndmask_b32_e32 v3, 0, v5, vcc
	v_cndmask_b32_e32 v2, 0, v7, vcc
	v_add_co_u32_e32 v0, vcc, v3, v0
	v_addc_co_u32_e32 v1, vcc, v2, v1, vcc
; %bb.313:
	s_or_b64 exec, exec, s[6:7]
	v_and_b32_e32 v3, 0x3c0, v16
	v_min_u32_e32 v3, 0xc0, v3
	v_or_b32_e32 v3, 63, v3
	v_lshrrev_b32_e32 v2, 6, v16
	v_cmp_eq_u32_e32 vcc, v3, v16
	s_and_saveexec_b64 s[4:5], vcc
	s_cbranch_execz .LBB25_315
; %bb.314:
	v_lshlrev_b32_e32 v3, 3, v2
	ds_write_b64 v3, v[0:1]
.LBB25_315:
	s_or_b64 exec, exec, s[4:5]
	v_cmp_gt_u32_e32 vcc, 4, v16
	s_waitcnt lgkmcnt(0)
	s_barrier
	s_and_saveexec_b64 s[6:7], vcc
	s_cbranch_execz .LBB25_317
; %bb.316:
	v_lshlrev_b32_e32 v1, 3, v16
	ds_read_b64 v[4:5], v1
	v_and_b32_e32 v3, 3, v18
	v_cmp_ne_u32_e64 s[4:5], 1, v3
	s_waitcnt lgkmcnt(0)
	v_mov_b32_dpp v6, v4 row_shr:1 row_mask:0xf bank_mask:0xf
	v_add_co_u32_e32 v6, vcc, v4, v6
	v_addc_co_u32_e32 v10, vcc, 0, v5, vcc
	v_mov_b32_dpp v7, v5 row_shr:1 row_mask:0xf bank_mask:0xf
	v_add_co_u32_e32 v11, vcc, 0, v6
	v_addc_co_u32_e32 v7, vcc, v7, v10, vcc
	v_cmp_eq_u32_e32 vcc, 0, v3
	v_cndmask_b32_e32 v6, v6, v4, vcc
	v_cndmask_b32_e32 v10, v7, v5, vcc
	s_nop 0
	v_mov_b32_dpp v6, v6 row_shr:2 row_mask:0xf bank_mask:0xf
	v_mov_b32_dpp v10, v10 row_shr:2 row_mask:0xf bank_mask:0xf
	v_cndmask_b32_e64 v3, 0, v6, s[4:5]
	v_cndmask_b32_e64 v6, 0, v10, s[4:5]
	v_add_co_u32_e64 v3, s[4:5], v3, v11
	v_addc_co_u32_e64 v6, s[4:5], v6, v7, s[4:5]
	v_cndmask_b32_e32 v5, v6, v5, vcc
	v_cndmask_b32_e32 v4, v3, v4, vcc
	ds_write_b64 v1, v[4:5]
.LBB25_317:
	s_or_b64 exec, exec, s[6:7]
	v_cmp_gt_u32_e32 vcc, 64, v16
	v_cmp_lt_u32_e64 s[4:5], 63, v16
	s_waitcnt lgkmcnt(0)
	s_barrier
	s_waitcnt lgkmcnt(0)
                                        ; implicit-def: $vgpr10_vgpr11
	s_and_saveexec_b64 s[6:7], s[4:5]
	s_cbranch_execz .LBB25_319
; %bb.318:
	v_lshl_add_u32 v1, v2, 3, -8
	ds_read_b64 v[10:11], v1
	s_waitcnt lgkmcnt(0)
	v_add_co_u32_e64 v0, s[4:5], v10, v0
.LBB25_319:
	s_or_b64 exec, exec, s[6:7]
	v_add_u32_e32 v1, -1, v18
	v_and_b32_e32 v2, 64, v18
	v_cmp_lt_i32_e64 s[4:5], v1, v2
	v_cndmask_b32_e64 v1, v1, v18, s[4:5]
	v_lshlrev_b32_e32 v1, 2, v1
	ds_bpermute_b32 v11, v1, v0
	s_and_saveexec_b64 s[26:27], vcc
	s_cbranch_execz .LBB25_338
; %bb.320:
	v_mov_b32_e32 v3, 0
	ds_read_b64 v[0:1], v3 offset:24
	s_and_saveexec_b64 s[4:5], s[2:3]
	s_cbranch_execz .LBB25_322
; %bb.321:
	s_add_i32 s6, s14, 64
	s_mov_b32 s7, 0
	s_lshl_b64 s[6:7], s[6:7], 4
	s_add_u32 s6, s12, s6
	s_addc_u32 s7, s13, s7
	v_mov_b32_e32 v2, 1
	v_pk_mov_b32 v[4:5], s[6:7], s[6:7] op_sel:[0,1]
	s_waitcnt lgkmcnt(0)
	;;#ASMSTART
	global_store_dwordx4 v[4:5], v[0:3] off	
s_waitcnt vmcnt(0)
	;;#ASMEND
.LBB25_322:
	s_or_b64 exec, exec, s[4:5]
	v_xad_u32 v12, v18, -1, s14
	v_add_u32_e32 v2, 64, v12
	v_lshlrev_b64 v[4:5], 4, v[2:3]
	v_mov_b32_e32 v2, s13
	v_add_co_u32_e32 v14, vcc, s12, v4
	v_addc_co_u32_e32 v15, vcc, v2, v5, vcc
	;;#ASMSTART
	global_load_dwordx4 v[4:7], v[14:15] off glc	
s_waitcnt vmcnt(0)
	;;#ASMEND
	v_and_b32_e32 v2, 0xff, v5
	v_and_b32_e32 v7, 0xff00, v5
	;; [unrolled: 1-line block ×3, first 2 shown]
	v_or3_b32 v2, 0, v2, v7
	v_or3_b32 v4, v4, 0, 0
	v_and_b32_e32 v5, 0xff000000, v5
	v_or3_b32 v5, v2, v13, v5
	v_or3_b32 v4, v4, 0, 0
	v_cmp_eq_u16_sdwa s[6:7], v6, v3 src0_sel:BYTE_0 src1_sel:DWORD
	s_and_saveexec_b64 s[4:5], s[6:7]
	s_cbranch_execz .LBB25_326
; %bb.323:
	s_mov_b64 s[6:7], 0
	v_mov_b32_e32 v2, 0
.LBB25_324:                             ; =>This Inner Loop Header: Depth=1
	;;#ASMSTART
	global_load_dwordx4 v[4:7], v[14:15] off glc	
s_waitcnt vmcnt(0)
	;;#ASMEND
	v_cmp_ne_u16_sdwa s[28:29], v6, v2 src0_sel:BYTE_0 src1_sel:DWORD
	s_or_b64 s[6:7], s[28:29], s[6:7]
	s_andn2_b64 exec, exec, s[6:7]
	s_cbranch_execnz .LBB25_324
; %bb.325:
	s_or_b64 exec, exec, s[6:7]
.LBB25_326:
	s_or_b64 exec, exec, s[4:5]
	v_and_b32_e32 v45, 63, v18
	v_mov_b32_e32 v44, 2
	v_cmp_ne_u32_e32 vcc, 63, v45
	v_cmp_eq_u16_sdwa s[4:5], v6, v44 src0_sel:BYTE_0 src1_sel:DWORD
	v_lshlrev_b64 v[14:15], v18, -1
	v_addc_co_u32_e32 v7, vcc, 0, v18, vcc
	v_and_b32_e32 v2, s5, v15
	v_lshlrev_b32_e32 v46, 2, v7
	v_or_b32_e32 v2, 0x80000000, v2
	ds_bpermute_b32 v7, v46, v4
	v_and_b32_e32 v3, s4, v14
	v_ffbl_b32_e32 v2, v2
	v_add_u32_e32 v2, 32, v2
	v_ffbl_b32_e32 v3, v3
	v_min_u32_e32 v2, v3, v2
	ds_bpermute_b32 v3, v46, v5
	s_waitcnt lgkmcnt(1)
	v_add_co_u32_e32 v7, vcc, v4, v7
	v_addc_co_u32_e32 v19, vcc, 0, v5, vcc
	v_add_co_u32_e32 v48, vcc, 0, v7
	v_cmp_gt_u32_e64 s[4:5], 62, v45
	s_waitcnt lgkmcnt(0)
	v_addc_co_u32_e32 v3, vcc, v3, v19, vcc
	v_cndmask_b32_e64 v19, 0, 1, s[4:5]
	v_cmp_lt_u32_e32 vcc, v45, v2
	v_lshlrev_b32_e32 v19, 1, v19
	v_cndmask_b32_e32 v7, v4, v7, vcc
	v_add_lshl_u32 v47, v19, v18, 2
	v_cndmask_b32_e32 v3, v5, v3, vcc
	ds_bpermute_b32 v19, v47, v7
	ds_bpermute_b32 v49, v47, v3
	v_cndmask_b32_e32 v50, v4, v48, vcc
	v_add_u32_e32 v48, 2, v45
	v_cmp_gt_u32_e64 s[6:7], 60, v45
	s_waitcnt lgkmcnt(1)
	v_add_co_u32_e64 v19, s[4:5], v19, v50
	s_waitcnt lgkmcnt(0)
	v_addc_co_u32_e64 v49, s[4:5], v49, v3, s[4:5]
	v_cmp_gt_u32_e64 s[4:5], v48, v2
	v_cndmask_b32_e64 v3, v49, v3, s[4:5]
	v_cndmask_b32_e64 v49, 0, 1, s[6:7]
	v_lshlrev_b32_e32 v49, 2, v49
	v_cndmask_b32_e64 v7, v19, v7, s[4:5]
	v_add_lshl_u32 v49, v49, v18, 2
	ds_bpermute_b32 v51, v49, v7
	ds_bpermute_b32 v52, v49, v3
	v_cndmask_b32_e64 v19, v19, v50, s[4:5]
	v_add_u32_e32 v50, 4, v45
	v_cmp_gt_u32_e64 s[6:7], 56, v45
	s_waitcnt lgkmcnt(1)
	v_add_co_u32_e64 v53, s[4:5], v51, v19
	s_waitcnt lgkmcnt(0)
	v_addc_co_u32_e64 v51, s[4:5], v52, v3, s[4:5]
	v_cmp_gt_u32_e64 s[4:5], v50, v2
	v_cndmask_b32_e64 v3, v51, v3, s[4:5]
	v_cndmask_b32_e64 v51, 0, 1, s[6:7]
	v_lshlrev_b32_e32 v51, 3, v51
	v_cndmask_b32_e64 v7, v53, v7, s[4:5]
	v_add_lshl_u32 v51, v51, v18, 2
	ds_bpermute_b32 v54, v51, v7
	v_cndmask_b32_e64 v19, v53, v19, s[4:5]
	ds_bpermute_b32 v53, v51, v3
	v_add_u32_e32 v52, 8, v45
	v_cmp_gt_u32_e64 s[6:7], 48, v45
	s_waitcnt lgkmcnt(1)
	v_add_co_u32_e64 v54, s[4:5], v54, v19
	s_waitcnt lgkmcnt(0)
	v_addc_co_u32_e64 v53, s[4:5], v53, v3, s[4:5]
	v_cmp_gt_u32_e64 s[4:5], v52, v2
	v_cndmask_b32_e64 v3, v53, v3, s[4:5]
	v_cndmask_b32_e64 v53, 0, 1, s[6:7]
	v_lshlrev_b32_e32 v53, 4, v53
	v_cndmask_b32_e64 v7, v54, v7, s[4:5]
	v_add_lshl_u32 v53, v53, v18, 2
	ds_bpermute_b32 v55, v53, v7
	ds_bpermute_b32 v56, v53, v3
	v_cndmask_b32_e64 v19, v54, v19, s[4:5]
	v_cmp_gt_u32_e64 s[6:7], 32, v45
	v_add_u32_e32 v54, 16, v45
	s_waitcnt lgkmcnt(1)
	v_add_co_u32_e64 v57, s[4:5], v55, v19
	s_waitcnt lgkmcnt(0)
	v_addc_co_u32_e64 v56, s[4:5], v56, v3, s[4:5]
	v_cndmask_b32_e64 v55, 0, 1, s[6:7]
	v_cmp_gt_u32_e64 s[4:5], v54, v2
	v_lshlrev_b32_e32 v55, 5, v55
	v_cndmask_b32_e64 v7, v57, v7, s[4:5]
	v_add_lshl_u32 v55, v55, v18, 2
	v_cndmask_b32_e64 v3, v56, v3, s[4:5]
	ds_bpermute_b32 v7, v55, v7
	ds_bpermute_b32 v18, v55, v3
	v_add_u32_e32 v56, 32, v45
	v_cndmask_b32_e64 v19, v57, v19, s[4:5]
	v_cmp_le_u32_e64 s[4:5], v56, v2
	s_waitcnt lgkmcnt(1)
	v_cndmask_b32_e64 v7, 0, v7, s[4:5]
	s_waitcnt lgkmcnt(0)
	v_cndmask_b32_e64 v2, 0, v18, s[4:5]
	v_add_co_u32_e64 v7, s[4:5], v7, v19
	v_addc_co_u32_e64 v2, s[4:5], v2, v3, s[4:5]
	v_mov_b32_e32 v13, 0
	v_cndmask_b32_e32 v5, v5, v2, vcc
	v_cndmask_b32_e32 v4, v4, v7, vcc
	s_branch .LBB25_328
.LBB25_327:                             ;   in Loop: Header=BB25_328 Depth=1
	s_or_b64 exec, exec, s[4:5]
	v_cmp_eq_u16_sdwa s[4:5], v6, v44 src0_sel:BYTE_0 src1_sel:DWORD
	v_and_b32_e32 v7, s5, v15
	v_or_b32_e32 v7, 0x80000000, v7
	ds_bpermute_b32 v19, v46, v4
	v_and_b32_e32 v18, s4, v14
	v_ffbl_b32_e32 v7, v7
	v_add_u32_e32 v7, 32, v7
	v_ffbl_b32_e32 v18, v18
	v_min_u32_e32 v7, v18, v7
	ds_bpermute_b32 v18, v46, v5
	s_waitcnt lgkmcnt(1)
	v_add_co_u32_e32 v19, vcc, v4, v19
	v_addc_co_u32_e32 v57, vcc, 0, v5, vcc
	v_add_co_u32_e32 v58, vcc, 0, v19
	s_waitcnt lgkmcnt(0)
	v_addc_co_u32_e32 v18, vcc, v18, v57, vcc
	v_cmp_lt_u32_e32 vcc, v45, v7
	v_cndmask_b32_e32 v19, v4, v19, vcc
	ds_bpermute_b32 v57, v47, v19
	v_cndmask_b32_e32 v18, v5, v18, vcc
	ds_bpermute_b32 v59, v47, v18
	v_cndmask_b32_e32 v58, v4, v58, vcc
	v_subrev_u32_e32 v12, 64, v12
	s_waitcnt lgkmcnt(1)
	v_add_co_u32_e64 v57, s[4:5], v57, v58
	s_waitcnt lgkmcnt(0)
	v_addc_co_u32_e64 v59, s[4:5], v59, v18, s[4:5]
	v_cmp_gt_u32_e64 s[4:5], v48, v7
	v_cndmask_b32_e64 v19, v57, v19, s[4:5]
	ds_bpermute_b32 v60, v49, v19
	v_cndmask_b32_e64 v18, v59, v18, s[4:5]
	ds_bpermute_b32 v59, v49, v18
	v_cndmask_b32_e64 v57, v57, v58, s[4:5]
	s_waitcnt lgkmcnt(1)
	v_add_co_u32_e64 v58, s[4:5], v60, v57
	s_waitcnt lgkmcnt(0)
	v_addc_co_u32_e64 v59, s[4:5], v59, v18, s[4:5]
	v_cmp_gt_u32_e64 s[4:5], v50, v7
	v_cndmask_b32_e64 v19, v58, v19, s[4:5]
	ds_bpermute_b32 v60, v51, v19
	v_cndmask_b32_e64 v18, v59, v18, s[4:5]
	ds_bpermute_b32 v59, v51, v18
	v_cndmask_b32_e64 v57, v58, v57, s[4:5]
	;; [unrolled: 10-line block ×3, first 2 shown]
	s_waitcnt lgkmcnt(1)
	v_add_co_u32_e64 v58, s[4:5], v60, v57
	s_waitcnt lgkmcnt(0)
	v_addc_co_u32_e64 v59, s[4:5], v59, v18, s[4:5]
	v_cmp_gt_u32_e64 s[4:5], v54, v7
	v_cndmask_b32_e64 v19, v58, v19, s[4:5]
	v_cndmask_b32_e64 v18, v59, v18, s[4:5]
	ds_bpermute_b32 v19, v55, v19
	ds_bpermute_b32 v59, v55, v18
	v_cndmask_b32_e64 v57, v58, v57, s[4:5]
	v_cmp_le_u32_e64 s[4:5], v56, v7
	s_waitcnt lgkmcnt(1)
	v_cndmask_b32_e64 v19, 0, v19, s[4:5]
	s_waitcnt lgkmcnt(0)
	v_cndmask_b32_e64 v7, 0, v59, s[4:5]
	v_add_co_u32_e64 v19, s[4:5], v19, v57
	v_addc_co_u32_e64 v7, s[4:5], v7, v18, s[4:5]
	v_cndmask_b32_e32 v4, v4, v19, vcc
	v_cndmask_b32_e32 v5, v5, v7, vcc
	v_add_co_u32_e32 v4, vcc, v4, v2
	v_addc_co_u32_e32 v5, vcc, v5, v3, vcc
.LBB25_328:                             ; =>This Loop Header: Depth=1
                                        ;     Child Loop BB25_331 Depth 2
	v_cmp_ne_u16_sdwa s[4:5], v6, v44 src0_sel:BYTE_0 src1_sel:DWORD
	v_cndmask_b32_e64 v2, 0, 1, s[4:5]
	;;#ASMSTART
	;;#ASMEND
	v_cmp_ne_u32_e32 vcc, 0, v2
	s_cmp_lg_u64 vcc, exec
	v_pk_mov_b32 v[2:3], v[4:5], v[4:5] op_sel:[0,1]
	s_cbranch_scc1 .LBB25_333
; %bb.329:                              ;   in Loop: Header=BB25_328 Depth=1
	v_lshlrev_b64 v[4:5], 4, v[12:13]
	v_mov_b32_e32 v6, s13
	v_add_co_u32_e32 v18, vcc, s12, v4
	v_addc_co_u32_e32 v19, vcc, v6, v5, vcc
	;;#ASMSTART
	global_load_dwordx4 v[4:7], v[18:19] off glc	
s_waitcnt vmcnt(0)
	;;#ASMEND
	v_and_b32_e32 v7, 0xff, v5
	v_and_b32_e32 v57, 0xff00, v5
	;; [unrolled: 1-line block ×3, first 2 shown]
	v_or3_b32 v7, 0, v7, v57
	v_or3_b32 v4, v4, 0, 0
	v_and_b32_e32 v5, 0xff000000, v5
	v_or3_b32 v5, v7, v58, v5
	v_or3_b32 v4, v4, 0, 0
	v_cmp_eq_u16_sdwa s[6:7], v6, v13 src0_sel:BYTE_0 src1_sel:DWORD
	s_and_saveexec_b64 s[4:5], s[6:7]
	s_cbranch_execz .LBB25_327
; %bb.330:                              ;   in Loop: Header=BB25_328 Depth=1
	s_mov_b64 s[6:7], 0
.LBB25_331:                             ;   Parent Loop BB25_328 Depth=1
                                        ; =>  This Inner Loop Header: Depth=2
	;;#ASMSTART
	global_load_dwordx4 v[4:7], v[18:19] off glc	
s_waitcnt vmcnt(0)
	;;#ASMEND
	v_cmp_ne_u16_sdwa s[28:29], v6, v13 src0_sel:BYTE_0 src1_sel:DWORD
	s_or_b64 s[6:7], s[28:29], s[6:7]
	s_andn2_b64 exec, exec, s[6:7]
	s_cbranch_execnz .LBB25_331
; %bb.332:                              ;   in Loop: Header=BB25_328 Depth=1
	s_or_b64 exec, exec, s[6:7]
	s_branch .LBB25_327
.LBB25_333:                             ;   in Loop: Header=BB25_328 Depth=1
                                        ; implicit-def: $vgpr4_vgpr5
                                        ; implicit-def: $vgpr6
	s_cbranch_execz .LBB25_328
; %bb.334:
	s_and_saveexec_b64 s[4:5], s[2:3]
	s_cbranch_execz .LBB25_336
; %bb.335:
	s_add_i32 s6, s14, 64
	s_mov_b32 s7, 0
	s_lshl_b64 s[6:7], s[6:7], 4
	s_add_u32 s6, s12, s6
	v_add_co_u32_e32 v4, vcc, v2, v0
	s_addc_u32 s7, s13, s7
	v_addc_co_u32_e32 v5, vcc, v3, v1, vcc
	v_mov_b32_e32 v6, 2
	v_mov_b32_e32 v7, 0
	v_pk_mov_b32 v[12:13], s[6:7], s[6:7] op_sel:[0,1]
	;;#ASMSTART
	global_store_dwordx4 v[12:13], v[4:7] off	
s_waitcnt vmcnt(0)
	;;#ASMEND
	ds_write_b128 v7, v[0:3] offset:32
.LBB25_336:
	s_or_b64 exec, exec, s[4:5]
	s_and_b64 exec, exec, s[0:1]
	s_cbranch_execz .LBB25_338
; %bb.337:
	v_mov_b32_e32 v0, 0
	ds_write_b64 v0, v[2:3] offset:24
.LBB25_338:
	s_or_b64 exec, exec, s[26:27]
	v_mov_b32_e32 v0, 0
	s_waitcnt lgkmcnt(0)
	s_barrier
	ds_read_b64 v[4:5], v0 offset:24
	s_waitcnt lgkmcnt(0)
	s_barrier
	ds_read_b128 v[0:3], v0 offset:32
	v_cndmask_b32_e64 v6, v11, v10, s[2:3]
	s_waitcnt lgkmcnt(0)
	v_cndmask_b32_e64 v1, v6, 0, s[0:1]
	v_add_co_u32_e32 v4, vcc, v4, v1
	s_branch .LBB25_351
.LBB25_339:
                                        ; implicit-def: $vgpr2_vgpr3
                                        ; implicit-def: $vgpr4_vgpr5
	s_cbranch_execz .LBB25_351
; %bb.340:
	s_nop 0
	v_mov_b32_dpp v2, v8 row_shr:1 row_mask:0xf bank_mask:0xf
	v_mov_b32_e32 v0, 0
	v_add_co_u32_e32 v2, vcc, v2, v8
	v_mbcnt_hi_u32_b32 v4, -1, v43
	v_mov_b32_dpp v0, v0 row_shr:1 row_mask:0xf bank_mask:0xf
	v_addc_co_u32_e64 v3, s[2:3], 0, 0, vcc
	v_add_co_u32_e32 v5, vcc, 0, v2
	v_and_b32_e32 v1, 15, v4
	v_addc_co_u32_e32 v0, vcc, v0, v3, vcc
	v_cmp_eq_u32_e32 vcc, 0, v1
	v_cndmask_b32_e32 v2, v2, v8, vcc
	v_cndmask_b32_e64 v0, v0, 0, vcc
	v_cndmask_b32_e32 v3, v5, v8, vcc
	v_mov_b32_dpp v5, v2 row_shr:2 row_mask:0xf bank_mask:0xf
	v_mov_b32_dpp v6, v0 row_shr:2 row_mask:0xf bank_mask:0xf
	v_add_co_u32_e32 v5, vcc, v5, v3
	v_addc_co_u32_e32 v6, vcc, v6, v0, vcc
	v_cmp_lt_u32_e32 vcc, 1, v1
	v_cndmask_b32_e32 v2, v2, v5, vcc
	v_cndmask_b32_e32 v0, v0, v6, vcc
	v_cndmask_b32_e32 v3, v3, v5, vcc
	v_mov_b32_dpp v5, v2 row_shr:4 row_mask:0xf bank_mask:0xf
	v_mov_b32_dpp v6, v0 row_shr:4 row_mask:0xf bank_mask:0xf
	v_add_co_u32_e32 v5, vcc, v5, v3
	v_addc_co_u32_e32 v6, vcc, v6, v0, vcc
	v_cmp_lt_u32_e32 vcc, 3, v1
	v_cndmask_b32_e32 v2, v2, v5, vcc
	v_cndmask_b32_e32 v0, v0, v6, vcc
	;; [unrolled: 8-line block ×3, first 2 shown]
	v_cndmask_b32_e32 v0, v3, v5, vcc
	v_mov_b32_dpp v3, v1 row_bcast:15 row_mask:0xf bank_mask:0xf
	v_mov_b32_dpp v2, v6 row_bcast:15 row_mask:0xf bank_mask:0xf
	v_and_b32_e32 v7, 16, v4
	v_add_co_u32_e32 v2, vcc, v2, v0
	v_addc_co_u32_e32 v5, vcc, v3, v1, vcc
	v_cmp_eq_u32_e64 s[2:3], 0, v7
	v_cndmask_b32_e64 v7, v5, v1, s[2:3]
	v_cndmask_b32_e64 v3, v2, v6, s[2:3]
	v_cmp_eq_u32_e32 vcc, 0, v4
	v_mov_b32_dpp v6, v7 row_bcast:31 row_mask:0xf bank_mask:0xf
	v_mov_b32_dpp v3, v3 row_bcast:31 row_mask:0xf bank_mask:0xf
	v_cmp_ne_u32_e64 s[4:5], 0, v4
	s_and_saveexec_b64 s[6:7], s[4:5]
; %bb.341:
	v_cndmask_b32_e64 v1, v5, v1, s[2:3]
	v_cndmask_b32_e64 v0, v2, v0, s[2:3]
	v_cmp_lt_u32_e64 s[2:3], 31, v4
	v_cndmask_b32_e64 v3, 0, v3, s[2:3]
	v_cndmask_b32_e64 v2, 0, v6, s[2:3]
	v_add_co_u32_e64 v8, s[2:3], v3, v0
	v_addc_co_u32_e64 v9, s[2:3], v2, v1, s[2:3]
; %bb.342:
	s_or_b64 exec, exec, s[6:7]
	v_and_b32_e32 v1, 0x3c0, v16
	v_min_u32_e32 v1, 0xc0, v1
	v_or_b32_e32 v1, 63, v1
	v_lshrrev_b32_e32 v0, 6, v16
	v_cmp_eq_u32_e64 s[2:3], v1, v16
	s_and_saveexec_b64 s[4:5], s[2:3]
	s_cbranch_execz .LBB25_344
; %bb.343:
	v_lshlrev_b32_e32 v1, 3, v0
	ds_write_b64 v1, v[8:9]
.LBB25_344:
	s_or_b64 exec, exec, s[4:5]
	v_cmp_gt_u32_e64 s[2:3], 4, v16
	s_waitcnt lgkmcnt(0)
	s_barrier
	s_and_saveexec_b64 s[6:7], s[2:3]
	s_cbranch_execz .LBB25_346
; %bb.345:
	v_lshlrev_b32_e32 v1, 3, v16
	ds_read_b64 v[2:3], v1
	v_and_b32_e32 v5, 3, v4
	v_cmp_ne_u32_e64 s[4:5], 1, v5
	s_waitcnt lgkmcnt(0)
	v_mov_b32_dpp v6, v2 row_shr:1 row_mask:0xf bank_mask:0xf
	v_add_co_u32_e64 v6, s[2:3], v2, v6
	v_addc_co_u32_e64 v9, s[2:3], 0, v3, s[2:3]
	v_mov_b32_dpp v7, v3 row_shr:1 row_mask:0xf bank_mask:0xf
	v_add_co_u32_e64 v10, s[2:3], 0, v6
	v_addc_co_u32_e64 v7, s[2:3], v7, v9, s[2:3]
	v_cmp_eq_u32_e64 s[2:3], 0, v5
	v_cndmask_b32_e64 v6, v6, v2, s[2:3]
	v_cndmask_b32_e64 v9, v7, v3, s[2:3]
	s_nop 0
	v_mov_b32_dpp v6, v6 row_shr:2 row_mask:0xf bank_mask:0xf
	v_mov_b32_dpp v9, v9 row_shr:2 row_mask:0xf bank_mask:0xf
	v_cndmask_b32_e64 v5, 0, v6, s[4:5]
	v_cndmask_b32_e64 v6, 0, v9, s[4:5]
	v_add_co_u32_e64 v5, s[4:5], v5, v10
	v_addc_co_u32_e64 v6, s[4:5], v6, v7, s[4:5]
	v_cndmask_b32_e64 v3, v6, v3, s[2:3]
	v_cndmask_b32_e64 v2, v5, v2, s[2:3]
	ds_write_b64 v1, v[2:3]
.LBB25_346:
	s_or_b64 exec, exec, s[6:7]
	v_cmp_lt_u32_e64 s[2:3], 63, v16
	v_pk_mov_b32 v[2:3], 0, 0
	s_waitcnt lgkmcnt(0)
	s_barrier
	s_and_saveexec_b64 s[4:5], s[2:3]
	s_cbranch_execz .LBB25_348
; %bb.347:
	v_lshl_add_u32 v0, v0, 3, -8
	ds_read_b64 v[2:3], v0
.LBB25_348:
	s_or_b64 exec, exec, s[4:5]
	v_add_u32_e32 v1, -1, v4
	s_waitcnt lgkmcnt(0)
	v_and_b32_e32 v3, 64, v4
	v_cmp_lt_i32_e64 s[2:3], v1, v3
	v_cndmask_b32_e64 v1, v1, v4, s[2:3]
	v_add_u32_e32 v0, v2, v8
	v_lshlrev_b32_e32 v1, 2, v1
	ds_bpermute_b32 v4, v1, v0
	v_mov_b32_e32 v3, 0
	ds_read_b64 v[0:1], v3 offset:24
	s_waitcnt lgkmcnt(1)
	v_cndmask_b32_e32 v4, v4, v2, vcc
	s_and_saveexec_b64 s[2:3], s[0:1]
	s_cbranch_execz .LBB25_350
; %bb.349:
	s_add_u32 s0, s12, 0x400
	s_addc_u32 s1, s13, 0
	v_mov_b32_e32 v2, 2
	v_pk_mov_b32 v[6:7], s[0:1], s[0:1] op_sel:[0,1]
	s_waitcnt lgkmcnt(0)
	;;#ASMSTART
	global_store_dwordx4 v[6:7], v[0:3] off	
s_waitcnt vmcnt(0)
	;;#ASMEND
.LBB25_350:
	s_or_b64 exec, exec, s[2:3]
	v_pk_mov_b32 v[2:3], 0, 0
.LBB25_351:
	s_waitcnt lgkmcnt(0)
	v_sub_u32_e32 v1, v4, v2
	s_barrier
	s_and_saveexec_b64 s[0:1], s[24:25]
	s_cbranch_execnz .LBB25_389
; %bb.352:
	s_or_b64 exec, exec, s[0:1]
	s_and_saveexec_b64 s[0:1], s[22:23]
	s_cbranch_execnz .LBB25_390
.LBB25_353:
	s_or_b64 exec, exec, s[0:1]
	s_and_saveexec_b64 s[0:1], s[20:21]
	s_cbranch_execnz .LBB25_391
.LBB25_354:
	s_or_b64 exec, exec, s[0:1]
	s_and_saveexec_b64 s[0:1], s[18:19]
	s_cbranch_execnz .LBB25_392
.LBB25_355:
	s_or_b64 exec, exec, s[0:1]
	s_and_saveexec_b64 s[0:1], s[16:17]
	s_cbranch_execnz .LBB25_393
.LBB25_356:
	s_or_b64 exec, exec, s[0:1]
	s_and_saveexec_b64 s[0:1], s[10:11]
	s_cbranch_execz .LBB25_358
.LBB25_357:
	v_lshlrev_b32_e32 v4, 2, v1
	v_add_u32_e32 v1, 1, v1
	ds_write_b32 v4, v27 offset:1024
.LBB25_358:
	s_or_b64 exec, exec, s[0:1]
	v_and_b32_e32 v4, 64, v42
	v_cmp_ne_u32_e32 vcc, 0, v4
	s_and_saveexec_b64 s[0:1], vcc
	s_cbranch_execz .LBB25_360
; %bb.359:
	v_lshlrev_b32_e32 v4, 2, v1
	v_add_u32_e32 v1, 1, v1
	ds_write_b32 v4, v28 offset:1024
.LBB25_360:
	s_or_b64 exec, exec, s[0:1]
	v_and_b32_e32 v4, 0x80, v41
	v_cmp_ne_u32_e32 vcc, 0, v4
	s_and_saveexec_b64 s[0:1], vcc
	s_cbranch_execz .LBB25_362
; %bb.361:
	v_lshlrev_b32_e32 v4, 2, v1
	v_add_u32_e32 v1, 1, v1
	ds_write_b32 v4, v29 offset:1024
.LBB25_362:
	;; [unrolled: 10-line block ×9, first 2 shown]
	s_or_b64 exec, exec, s[0:1]
	v_and_b32_e32 v4, 0x8000, v20
	v_cmp_ne_u32_e32 vcc, 0, v4
	s_and_saveexec_b64 s[0:1], vcc
	s_cbranch_execz .LBB25_378
; %bb.377:
	v_lshlrev_b32_e32 v1, 2, v1
	ds_write_b32 v1, v37 offset:1024
.LBB25_378:
	s_or_b64 exec, exec, s[0:1]
	v_cmp_lt_i32_e32 vcc, v16, v0
	s_waitcnt lgkmcnt(0)
	s_barrier
	s_and_saveexec_b64 s[0:1], vcc
	s_cbranch_execz .LBB25_388
; %bb.379:
	v_xad_u32 v1, v16, -1, v0
	s_movk_i32 s0, 0xff
	v_cmp_lt_u32_e32 vcc, s0, v1
	s_mov_b64 s[0:1], -1
	v_lshlrev_b64 v[2:3], 2, v[2:3]
	s_and_saveexec_b64 s[2:3], vcc
	s_cbranch_execz .LBB25_385
; %bb.380:
	v_lshrrev_b32_e32 v1, 8, v1
	v_add_u32_e32 v8, 1, v1
	v_mov_b32_e32 v1, s9
	v_add_co_u32_e32 v9, vcc, s8, v2
	v_addc_co_u32_e32 v10, vcc, v1, v3, vcc
	v_and_b32_e32 v1, 0x1fffffe, v8
	v_add_u32_e32 v17, 0x100, v16
	s_mov_b64 s[4:5], 0
	v_mov_b32_e32 v5, 0
	v_mov_b32_e32 v11, v1
	v_pk_mov_b32 v[6:7], v[16:17], v[16:17] op_sel:[0,1]
.LBB25_381:                             ; =>This Inner Loop Header: Depth=1
	ds_read2st64_b32 v[12:13], v22 offset1:4
	v_mov_b32_e32 v4, v6
	v_add_u32_e32 v11, -2, v11
	v_lshlrev_b64 v[14:15], 2, v[4:5]
	v_mov_b32_e32 v4, v7
	v_cmp_eq_u32_e32 vcc, 0, v11
	v_add_co_u32_e64 v14, s[0:1], v9, v14
	v_lshlrev_b64 v[18:19], 2, v[4:5]
	v_add_u32_e32 v6, 0x200, v6
	v_add_u32_e32 v22, 0x800, v22
	;; [unrolled: 1-line block ×3, first 2 shown]
	v_addc_co_u32_e64 v15, s[0:1], v10, v15, s[0:1]
	s_or_b64 s[4:5], vcc, s[4:5]
	v_add_co_u32_e32 v18, vcc, v9, v18
	v_addc_co_u32_e32 v19, vcc, v10, v19, vcc
	s_waitcnt lgkmcnt(0)
	global_store_dword v[14:15], v12, off
	global_store_dword v[18:19], v13, off
	s_andn2_b64 exec, exec, s[4:5]
	s_cbranch_execnz .LBB25_381
; %bb.382:
	s_or_b64 exec, exec, s[4:5]
	v_cmp_ne_u32_e32 vcc, v8, v1
	s_mov_b64 s[0:1], 0
	s_and_saveexec_b64 s[4:5], vcc
; %bb.383:
	s_mov_b64 s[0:1], exec
	v_lshl_add_u32 v16, v1, 8, v16
	v_mov_b32_e32 v17, 0
; %bb.384:
	s_or_b64 exec, exec, s[4:5]
	s_orn2_b64 s[0:1], s[0:1], exec
.LBB25_385:
	s_or_b64 exec, exec, s[2:3]
	s_and_b64 exec, exec, s[0:1]
	s_cbranch_execz .LBB25_388
; %bb.386:
	v_mov_b32_e32 v6, s9
	v_add_co_u32_e32 v2, vcc, s8, v2
	v_lshlrev_b64 v[4:5], 2, v[16:17]
	v_addc_co_u32_e32 v3, vcc, v6, v3, vcc
	v_mov_b32_e32 v1, 0x400
	v_add_co_u32_e32 v2, vcc, v2, v4
	v_lshl_add_u32 v1, v16, 2, v1
	v_addc_co_u32_e32 v3, vcc, v3, v5, vcc
	s_mov_b64 s[0:1], 0
.LBB25_387:                             ; =>This Inner Loop Header: Depth=1
	ds_read_b32 v4, v1
	v_add_u32_e32 v16, 0x100, v16
	v_cmp_ge_i32_e32 vcc, v16, v0
	s_or_b64 s[0:1], vcc, s[0:1]
	v_add_u32_e32 v1, 0x400, v1
	s_waitcnt lgkmcnt(0)
	global_store_dword v[2:3], v4, off
	v_add_co_u32_e32 v2, vcc, 0x400, v2
	v_addc_co_u32_e32 v3, vcc, 0, v3, vcc
	s_andn2_b64 exec, exec, s[0:1]
	s_cbranch_execnz .LBB25_387
.LBB25_388:
	s_endpgm
.LBB25_389:
	v_lshlrev_b32_e32 v4, 2, v1
	v_add_u32_e32 v1, 1, v1
	ds_write_b32 v4, v21 offset:1024
	s_or_b64 exec, exec, s[0:1]
	s_and_saveexec_b64 s[0:1], s[22:23]
	s_cbranch_execz .LBB25_353
.LBB25_390:
	v_lshlrev_b32_e32 v4, 2, v1
	v_add_u32_e32 v1, 1, v1
	ds_write_b32 v4, v23 offset:1024
	s_or_b64 exec, exec, s[0:1]
	s_and_saveexec_b64 s[0:1], s[20:21]
	s_cbranch_execz .LBB25_354
.LBB25_391:
	v_lshlrev_b32_e32 v4, 2, v1
	v_add_u32_e32 v1, 1, v1
	ds_write_b32 v4, v24 offset:1024
	s_or_b64 exec, exec, s[0:1]
	s_and_saveexec_b64 s[0:1], s[18:19]
	s_cbranch_execz .LBB25_355
.LBB25_392:
	v_lshlrev_b32_e32 v4, 2, v1
	v_add_u32_e32 v1, 1, v1
	ds_write_b32 v4, v25 offset:1024
	s_or_b64 exec, exec, s[0:1]
	s_and_saveexec_b64 s[0:1], s[16:17]
	s_cbranch_execz .LBB25_356
.LBB25_393:
	v_lshlrev_b32_e32 v4, 2, v1
	v_add_u32_e32 v1, 1, v1
	ds_write_b32 v4, v26 offset:1024
	s_or_b64 exec, exec, s[0:1]
	s_and_saveexec_b64 s[0:1], s[10:11]
	s_cbranch_execnz .LBB25_357
	s_branch .LBB25_358
	.section	.rodata,"a",@progbits
	.p2align	6, 0x0
	.amdhsa_kernel _ZN6thrust23THRUST_200600_302600_NS11hip_rocprim16__set_operations22lookback_set_op_kernelIN7rocprim17ROCPRIM_400000_NS13kernel_configILj256ELj16ELj4294967295EEELb0ENS0_6detail15normal_iteratorINS0_10device_ptrIKiEEEESD_PiSE_lNS9_INSA_IiEEEESE_NS0_4lessIiEENS2_21serial_set_differenceENS5_6detail19lookback_scan_stateIlLb0ELb1EEEEEvT1_T2_T3_T4_T6_T7_T8_T9_PNS0_4pairIT5_SW_EEPSW_T10_NSK_16ordered_block_idIjEE
		.amdhsa_group_segment_fixed_size 36868
		.amdhsa_private_segment_fixed_size 0
		.amdhsa_kernarg_size 344
		.amdhsa_user_sgpr_count 6
		.amdhsa_user_sgpr_private_segment_buffer 1
		.amdhsa_user_sgpr_dispatch_ptr 0
		.amdhsa_user_sgpr_queue_ptr 0
		.amdhsa_user_sgpr_kernarg_segment_ptr 1
		.amdhsa_user_sgpr_dispatch_id 0
		.amdhsa_user_sgpr_flat_scratch_init 0
		.amdhsa_user_sgpr_kernarg_preload_length 0
		.amdhsa_user_sgpr_kernarg_preload_offset 0
		.amdhsa_user_sgpr_private_segment_size 0
		.amdhsa_uses_dynamic_stack 0
		.amdhsa_system_sgpr_private_segment_wavefront_offset 0
		.amdhsa_system_sgpr_workgroup_id_x 1
		.amdhsa_system_sgpr_workgroup_id_y 0
		.amdhsa_system_sgpr_workgroup_id_z 0
		.amdhsa_system_sgpr_workgroup_info 0
		.amdhsa_system_vgpr_workitem_id 2
		.amdhsa_next_free_vgpr 65
		.amdhsa_next_free_sgpr 46
		.amdhsa_accum_offset 68
		.amdhsa_reserve_vcc 1
		.amdhsa_reserve_flat_scratch 0
		.amdhsa_float_round_mode_32 0
		.amdhsa_float_round_mode_16_64 0
		.amdhsa_float_denorm_mode_32 3
		.amdhsa_float_denorm_mode_16_64 3
		.amdhsa_dx10_clamp 1
		.amdhsa_ieee_mode 1
		.amdhsa_fp16_overflow 0
		.amdhsa_tg_split 0
		.amdhsa_exception_fp_ieee_invalid_op 0
		.amdhsa_exception_fp_denorm_src 0
		.amdhsa_exception_fp_ieee_div_zero 0
		.amdhsa_exception_fp_ieee_overflow 0
		.amdhsa_exception_fp_ieee_underflow 0
		.amdhsa_exception_fp_ieee_inexact 0
		.amdhsa_exception_int_div_zero 0
	.end_amdhsa_kernel
	.section	.text._ZN6thrust23THRUST_200600_302600_NS11hip_rocprim16__set_operations22lookback_set_op_kernelIN7rocprim17ROCPRIM_400000_NS13kernel_configILj256ELj16ELj4294967295EEELb0ENS0_6detail15normal_iteratorINS0_10device_ptrIKiEEEESD_PiSE_lNS9_INSA_IiEEEESE_NS0_4lessIiEENS2_21serial_set_differenceENS5_6detail19lookback_scan_stateIlLb0ELb1EEEEEvT1_T2_T3_T4_T6_T7_T8_T9_PNS0_4pairIT5_SW_EEPSW_T10_NSK_16ordered_block_idIjEE,"axG",@progbits,_ZN6thrust23THRUST_200600_302600_NS11hip_rocprim16__set_operations22lookback_set_op_kernelIN7rocprim17ROCPRIM_400000_NS13kernel_configILj256ELj16ELj4294967295EEELb0ENS0_6detail15normal_iteratorINS0_10device_ptrIKiEEEESD_PiSE_lNS9_INSA_IiEEEESE_NS0_4lessIiEENS2_21serial_set_differenceENS5_6detail19lookback_scan_stateIlLb0ELb1EEEEEvT1_T2_T3_T4_T6_T7_T8_T9_PNS0_4pairIT5_SW_EEPSW_T10_NSK_16ordered_block_idIjEE,comdat
.Lfunc_end25:
	.size	_ZN6thrust23THRUST_200600_302600_NS11hip_rocprim16__set_operations22lookback_set_op_kernelIN7rocprim17ROCPRIM_400000_NS13kernel_configILj256ELj16ELj4294967295EEELb0ENS0_6detail15normal_iteratorINS0_10device_ptrIKiEEEESD_PiSE_lNS9_INSA_IiEEEESE_NS0_4lessIiEENS2_21serial_set_differenceENS5_6detail19lookback_scan_stateIlLb0ELb1EEEEEvT1_T2_T3_T4_T6_T7_T8_T9_PNS0_4pairIT5_SW_EEPSW_T10_NSK_16ordered_block_idIjEE, .Lfunc_end25-_ZN6thrust23THRUST_200600_302600_NS11hip_rocprim16__set_operations22lookback_set_op_kernelIN7rocprim17ROCPRIM_400000_NS13kernel_configILj256ELj16ELj4294967295EEELb0ENS0_6detail15normal_iteratorINS0_10device_ptrIKiEEEESD_PiSE_lNS9_INSA_IiEEEESE_NS0_4lessIiEENS2_21serial_set_differenceENS5_6detail19lookback_scan_stateIlLb0ELb1EEEEEvT1_T2_T3_T4_T6_T7_T8_T9_PNS0_4pairIT5_SW_EEPSW_T10_NSK_16ordered_block_idIjEE
                                        ; -- End function
	.section	.AMDGPU.csdata,"",@progbits
; Kernel info:
; codeLenInByte = 20020
; NumSgprs: 50
; NumVgprs: 65
; NumAgprs: 0
; TotalNumVgprs: 65
; ScratchSize: 0
; MemoryBound: 0
; FloatMode: 240
; IeeeMode: 1
; LDSByteSize: 36868 bytes/workgroup (compile time only)
; SGPRBlocks: 6
; VGPRBlocks: 8
; NumSGPRsForWavesPerEU: 50
; NumVGPRsForWavesPerEU: 65
; AccumOffset: 68
; Occupancy: 1
; WaveLimiterHint : 1
; COMPUTE_PGM_RSRC2:SCRATCH_EN: 0
; COMPUTE_PGM_RSRC2:USER_SGPR: 6
; COMPUTE_PGM_RSRC2:TRAP_HANDLER: 0
; COMPUTE_PGM_RSRC2:TGID_X_EN: 1
; COMPUTE_PGM_RSRC2:TGID_Y_EN: 0
; COMPUTE_PGM_RSRC2:TGID_Z_EN: 0
; COMPUTE_PGM_RSRC2:TIDIG_COMP_CNT: 2
; COMPUTE_PGM_RSRC3_GFX90A:ACCUM_OFFSET: 16
; COMPUTE_PGM_RSRC3_GFX90A:TG_SPLIT: 0
	.section	.text._ZN6thrust23THRUST_200600_302600_NS11hip_rocprim14__parallel_for6kernelILj256EZNS1_16__set_operations9doit_stepILb0ENS0_6detail15normal_iteratorINS0_10device_ptrIKiEEEESB_PiSC_lNS7_INS8_IiEEEESC_NS0_4lessIiEENS4_31serial_set_symmetric_differenceEEE10hipError_tPvRmT0_T1_T2_T3_T4_SP_T5_T6_PSP_T7_T8_P12ihipStream_tbEUllE_jLj1EEEvSL_SM_SM_,"axG",@progbits,_ZN6thrust23THRUST_200600_302600_NS11hip_rocprim14__parallel_for6kernelILj256EZNS1_16__set_operations9doit_stepILb0ENS0_6detail15normal_iteratorINS0_10device_ptrIKiEEEESB_PiSC_lNS7_INS8_IiEEEESC_NS0_4lessIiEENS4_31serial_set_symmetric_differenceEEE10hipError_tPvRmT0_T1_T2_T3_T4_SP_T5_T6_PSP_T7_T8_P12ihipStream_tbEUllE_jLj1EEEvSL_SM_SM_,comdat
	.protected	_ZN6thrust23THRUST_200600_302600_NS11hip_rocprim14__parallel_for6kernelILj256EZNS1_16__set_operations9doit_stepILb0ENS0_6detail15normal_iteratorINS0_10device_ptrIKiEEEESB_PiSC_lNS7_INS8_IiEEEESC_NS0_4lessIiEENS4_31serial_set_symmetric_differenceEEE10hipError_tPvRmT0_T1_T2_T3_T4_SP_T5_T6_PSP_T7_T8_P12ihipStream_tbEUllE_jLj1EEEvSL_SM_SM_ ; -- Begin function _ZN6thrust23THRUST_200600_302600_NS11hip_rocprim14__parallel_for6kernelILj256EZNS1_16__set_operations9doit_stepILb0ENS0_6detail15normal_iteratorINS0_10device_ptrIKiEEEESB_PiSC_lNS7_INS8_IiEEEESC_NS0_4lessIiEENS4_31serial_set_symmetric_differenceEEE10hipError_tPvRmT0_T1_T2_T3_T4_SP_T5_T6_PSP_T7_T8_P12ihipStream_tbEUllE_jLj1EEEvSL_SM_SM_
	.globl	_ZN6thrust23THRUST_200600_302600_NS11hip_rocprim14__parallel_for6kernelILj256EZNS1_16__set_operations9doit_stepILb0ENS0_6detail15normal_iteratorINS0_10device_ptrIKiEEEESB_PiSC_lNS7_INS8_IiEEEESC_NS0_4lessIiEENS4_31serial_set_symmetric_differenceEEE10hipError_tPvRmT0_T1_T2_T3_T4_SP_T5_T6_PSP_T7_T8_P12ihipStream_tbEUllE_jLj1EEEvSL_SM_SM_
	.p2align	8
	.type	_ZN6thrust23THRUST_200600_302600_NS11hip_rocprim14__parallel_for6kernelILj256EZNS1_16__set_operations9doit_stepILb0ENS0_6detail15normal_iteratorINS0_10device_ptrIKiEEEESB_PiSC_lNS7_INS8_IiEEEESC_NS0_4lessIiEENS4_31serial_set_symmetric_differenceEEE10hipError_tPvRmT0_T1_T2_T3_T4_SP_T5_T6_PSP_T7_T8_P12ihipStream_tbEUllE_jLj1EEEvSL_SM_SM_,@function
_ZN6thrust23THRUST_200600_302600_NS11hip_rocprim14__parallel_for6kernelILj256EZNS1_16__set_operations9doit_stepILb0ENS0_6detail15normal_iteratorINS0_10device_ptrIKiEEEESB_PiSC_lNS7_INS8_IiEEEESC_NS0_4lessIiEENS4_31serial_set_symmetric_differenceEEE10hipError_tPvRmT0_T1_T2_T3_T4_SP_T5_T6_PSP_T7_T8_P12ihipStream_tbEUllE_jLj1EEEvSL_SM_SM_: ; @_ZN6thrust23THRUST_200600_302600_NS11hip_rocprim14__parallel_for6kernelILj256EZNS1_16__set_operations9doit_stepILb0ENS0_6detail15normal_iteratorINS0_10device_ptrIKiEEEESB_PiSC_lNS7_INS8_IiEEEESC_NS0_4lessIiEENS4_31serial_set_symmetric_differenceEEE10hipError_tPvRmT0_T1_T2_T3_T4_SP_T5_T6_PSP_T7_T8_P12ihipStream_tbEUllE_jLj1EEEvSL_SM_SM_
; %bb.0:
	s_load_dwordx2 s[0:1], s[4:5], 0x30
	s_load_dwordx2 s[2:3], s[4:5], 0x20
	s_load_dwordx8 s[8:15], s[4:5], 0x0
	s_lshl_b32 s20, s6, 8
	s_waitcnt lgkmcnt(0)
	s_add_i32 s20, s20, s1
	s_sub_i32 s0, s0, s20
	s_cmpk_lt_u32 s0, 0x100
	s_cbranch_scc0 .LBB26_12
; %bb.1:
	v_cmp_gt_u32_e32 vcc, s0, v0
	s_mov_b64 s[4:5], 0
	s_mov_b64 s[0:1], 0
                                        ; implicit-def: $vgpr4_vgpr5
                                        ; implicit-def: $vgpr6_vgpr7
	s_and_saveexec_b64 s[6:7], vcc
	s_cbranch_execz .LBB26_13
; %bb.2:
	v_add_u32_e32 v6, s20, v0
	s_movk_i32 s0, 0xfff
	v_mad_u64_u32 v[2:3], s[0:1], v6, s0, 0
	s_add_u32 s0, s10, s8
	s_addc_u32 s1, s11, s9
	v_mov_b32_e32 v1, s1
	v_cmp_lt_i64_e32 vcc, s[0:1], v[2:3]
	v_cndmask_b32_e32 v5, v3, v1, vcc
	v_mov_b32_e32 v1, s0
	v_cndmask_b32_e32 v4, v2, v1, vcc
	v_mov_b32_e32 v1, s11
	v_subrev_co_u32_e32 v2, vcc, s10, v4
	v_subb_co_u32_e32 v3, vcc, v5, v1, vcc
	v_cmp_lt_i64_e32 vcc, 0, v[2:3]
	v_cndmask_b32_e32 v3, 0, v3, vcc
	v_cndmask_b32_e32 v2, 0, v2, vcc
	v_mov_b32_e32 v1, s9
	v_cmp_lt_i64_e32 vcc, s[8:9], v[4:5]
	v_cndmask_b32_e32 v9, v5, v1, vcc
	v_mov_b32_e32 v1, s8
	v_cndmask_b32_e32 v8, v4, v1, vcc
	v_mov_b32_e32 v7, 0
	s_mov_b64 s[0:1], 0
	v_cmp_lt_i64_e32 vcc, v[2:3], v[8:9]
	s_and_saveexec_b64 s[16:17], vcc
	s_cbranch_execz .LBB26_6
; %bb.3:
	v_lshlrev_b64 v[10:11], 2, v[4:5]
	v_mov_b32_e32 v12, s3
	v_add_co_u32_e32 v1, vcc, s2, v10
	v_addc_co_u32_e32 v10, vcc, v12, v11, vcc
	v_mov_b32_e32 v11, s15
.LBB26_4:                               ; =>This Inner Loop Header: Depth=1
	v_add_co_u32_e32 v12, vcc, v8, v2
	v_addc_co_u32_e32 v13, vcc, v9, v3, vcc
	v_ashrrev_i64 v[12:13], 1, v[12:13]
	v_lshlrev_b64 v[14:15], 2, v[12:13]
	v_not_b32_e32 v17, v13
	v_not_b32_e32 v16, v12
	v_add_co_u32_e32 v14, vcc, s14, v14
	v_addc_co_u32_e32 v15, vcc, v11, v15, vcc
	v_lshlrev_b64 v[16:17], 2, v[16:17]
	global_load_dword v18, v[14:15], off
	v_add_co_u32_e32 v14, vcc, v1, v16
	v_addc_co_u32_e32 v15, vcc, v10, v17, vcc
	global_load_dword v14, v[14:15], off
	v_add_co_u32_e32 v15, vcc, 1, v12
	v_addc_co_u32_e32 v16, vcc, 0, v13, vcc
	s_waitcnt vmcnt(0)
	v_cmp_lt_i32_e32 vcc, v14, v18
	v_cndmask_b32_e32 v9, v9, v13, vcc
	v_cndmask_b32_e32 v8, v8, v12, vcc
	;; [unrolled: 1-line block ×4, first 2 shown]
	v_cmp_ge_i64_e32 vcc, v[2:3], v[8:9]
	s_or_b64 s[0:1], vcc, s[0:1]
	s_andn2_b64 exec, exec, s[0:1]
	s_cbranch_execnz .LBB26_4
; %bb.5:
	s_or_b64 exec, exec, s[0:1]
.LBB26_6:
	s_or_b64 exec, exec, s[16:17]
	v_sub_co_u32_e32 v12, vcc, v4, v2
	v_subb_co_u32_e32 v13, vcc, v5, v3, vcc
	v_cmp_gt_i64_e32 vcc, s[10:11], v[12:13]
	v_pk_mov_b32 v[10:11], 0, 0
	s_and_saveexec_b64 s[16:17], vcc
	s_cbranch_execz .LBB26_38
; %bb.7:
	v_lshlrev_b64 v[8:9], 2, v[12:13]
	v_mov_b32_e32 v1, s3
	v_add_co_u32_e32 v10, vcc, s2, v8
	v_addc_co_u32_e32 v11, vcc, v1, v9, vcc
	global_load_dword v1, v[10:11], off
	v_cmp_lt_i64_e32 vcc, 0, v[2:3]
	v_pk_mov_b32 v[8:9], 0, 0
	v_pk_mov_b32 v[14:15], v[2:3], v[2:3] op_sel:[0,1]
	s_and_saveexec_b64 s[0:1], vcc
	s_cbranch_execnz .LBB26_14
; %bb.8:
	s_or_b64 exec, exec, s[0:1]
	v_cmp_lt_i64_e32 vcc, v[8:9], v[14:15]
	s_and_saveexec_b64 s[0:1], vcc
	s_cbranch_execnz .LBB26_15
.LBB26_9:
	s_or_b64 exec, exec, s[0:1]
	v_cmp_lt_i64_e32 vcc, v[8:9], v[14:15]
	s_and_saveexec_b64 s[0:1], vcc
	s_cbranch_execnz .LBB26_16
.LBB26_10:
	s_or_b64 exec, exec, s[0:1]
	v_cmp_lt_i64_e32 vcc, v[8:9], v[14:15]
	s_and_saveexec_b64 s[0:1], vcc
	s_cbranch_execnz .LBB26_17
.LBB26_11:
	s_or_b64 exec, exec, s[0:1]
	v_cmp_lt_i64_e32 vcc, v[8:9], v[14:15]
	s_and_saveexec_b64 s[0:1], vcc
	s_cbranch_execnz .LBB26_18
	s_branch .LBB26_21
.LBB26_12:
	s_mov_b64 s[0:1], 0
                                        ; implicit-def: $vgpr4_vgpr5
                                        ; implicit-def: $vgpr6_vgpr7
	s_cbranch_execnz .LBB26_39
	s_branch .LBB26_74
.LBB26_13:
	s_or_b64 exec, exec, s[6:7]
	s_and_b64 vcc, exec, s[4:5]
	s_cbranch_vccnz .LBB26_39
	s_branch .LBB26_74
.LBB26_14:
	s_movk_i32 s21, 0x1ff
	v_mad_u64_u32 v[8:9], s[18:19], v2, s21, 0
	v_mov_b32_e32 v14, v9
	v_mad_u64_u32 v[14:15], s[18:19], v3, s21, v[14:15]
	v_mov_b32_e32 v9, v14
	v_lshrrev_b64 v[14:15], 9, v[8:9]
	v_lshlrev_b64 v[8:9], 2, v[14:15]
	v_mov_b32_e32 v16, s15
	v_add_co_u32_e32 v8, vcc, s14, v8
	v_addc_co_u32_e32 v9, vcc, v16, v9, vcc
	global_load_dword v8, v[8:9], off
	v_add_co_u32_e32 v16, vcc, 1, v14
	v_addc_co_u32_e32 v9, vcc, 0, v15, vcc
	s_waitcnt vmcnt(0)
	v_cmp_lt_i32_e32 vcc, v8, v1
	v_cndmask_b32_e32 v9, 0, v9, vcc
	v_cndmask_b32_e32 v8, 0, v16, vcc
	;; [unrolled: 1-line block ×4, first 2 shown]
	s_or_b64 exec, exec, s[0:1]
	v_cmp_lt_i64_e32 vcc, v[8:9], v[14:15]
	s_and_saveexec_b64 s[0:1], vcc
	s_cbranch_execz .LBB26_9
.LBB26_15:
	s_movk_i32 s21, 0x7f
	v_mad_u64_u32 v[16:17], s[18:19], v14, s21, v[8:9]
	v_mov_b32_e32 v18, v17
	v_mad_u64_u32 v[18:19], s[18:19], v15, s21, v[18:19]
	v_mov_b32_e32 v17, v18
	v_lshrrev_b64 v[16:17], 7, v[16:17]
	v_lshlrev_b64 v[18:19], 2, v[16:17]
	v_mov_b32_e32 v20, s15
	v_add_co_u32_e32 v18, vcc, s14, v18
	v_addc_co_u32_e32 v19, vcc, v20, v19, vcc
	global_load_dword v18, v[18:19], off
	v_add_co_u32_e32 v19, vcc, 1, v16
	v_addc_co_u32_e32 v20, vcc, 0, v17, vcc
	s_waitcnt vmcnt(0)
	v_cmp_lt_i32_e32 vcc, v18, v1
	v_cndmask_b32_e32 v9, v9, v20, vcc
	v_cndmask_b32_e32 v8, v8, v19, vcc
	;; [unrolled: 1-line block ×4, first 2 shown]
	s_or_b64 exec, exec, s[0:1]
	v_cmp_lt_i64_e32 vcc, v[8:9], v[14:15]
	s_and_saveexec_b64 s[0:1], vcc
	s_cbranch_execz .LBB26_10
.LBB26_16:
	v_mad_u64_u32 v[16:17], s[18:19], v14, 31, v[8:9]
	v_mov_b32_e32 v18, v17
	v_mad_u64_u32 v[18:19], s[18:19], v15, 31, v[18:19]
	v_mov_b32_e32 v17, v18
	v_lshrrev_b64 v[16:17], 5, v[16:17]
	v_lshlrev_b64 v[18:19], 2, v[16:17]
	v_mov_b32_e32 v20, s15
	v_add_co_u32_e32 v18, vcc, s14, v18
	v_addc_co_u32_e32 v19, vcc, v20, v19, vcc
	global_load_dword v18, v[18:19], off
	v_add_co_u32_e32 v19, vcc, 1, v16
	v_addc_co_u32_e32 v20, vcc, 0, v17, vcc
	s_waitcnt vmcnt(0)
	v_cmp_lt_i32_e32 vcc, v18, v1
	v_cndmask_b32_e32 v9, v9, v20, vcc
	v_cndmask_b32_e32 v8, v8, v19, vcc
	;; [unrolled: 1-line block ×4, first 2 shown]
	s_or_b64 exec, exec, s[0:1]
	v_cmp_lt_i64_e32 vcc, v[8:9], v[14:15]
	s_and_saveexec_b64 s[0:1], vcc
	s_cbranch_execz .LBB26_11
.LBB26_17:
	v_mad_u64_u32 v[16:17], s[18:19], v14, 15, v[8:9]
	v_mov_b32_e32 v18, v17
	v_mad_u64_u32 v[18:19], s[18:19], v15, 15, v[18:19]
	v_mov_b32_e32 v17, v18
	v_lshrrev_b64 v[16:17], 4, v[16:17]
	v_lshlrev_b64 v[18:19], 2, v[16:17]
	v_mov_b32_e32 v20, s15
	v_add_co_u32_e32 v18, vcc, s14, v18
	v_addc_co_u32_e32 v19, vcc, v20, v19, vcc
	global_load_dword v18, v[18:19], off
	v_add_co_u32_e32 v19, vcc, 1, v16
	v_addc_co_u32_e32 v20, vcc, 0, v17, vcc
	s_waitcnt vmcnt(0)
	v_cmp_lt_i32_e32 vcc, v18, v1
	v_cndmask_b32_e32 v9, v9, v20, vcc
	v_cndmask_b32_e32 v8, v8, v19, vcc
	v_cndmask_b32_e32 v15, v17, v15, vcc
	v_cndmask_b32_e32 v14, v16, v14, vcc
	s_or_b64 exec, exec, s[0:1]
	v_cmp_lt_i64_e32 vcc, v[8:9], v[14:15]
	s_and_saveexec_b64 s[0:1], vcc
	s_cbranch_execz .LBB26_21
.LBB26_18:
	s_mov_b64 s[18:19], 0
	v_mov_b32_e32 v16, s15
.LBB26_19:                              ; =>This Inner Loop Header: Depth=1
	v_add_co_u32_e32 v18, vcc, v8, v14
	v_addc_co_u32_e32 v19, vcc, v9, v15, vcc
	v_ashrrev_i64 v[18:19], 1, v[18:19]
	v_lshlrev_b64 v[20:21], 2, v[18:19]
	v_add_co_u32_e32 v20, vcc, s14, v20
	v_addc_co_u32_e32 v21, vcc, v16, v21, vcc
	global_load_dword v17, v[20:21], off
	v_add_co_u32_e32 v20, vcc, 1, v18
	v_addc_co_u32_e32 v21, vcc, 0, v19, vcc
	s_waitcnt vmcnt(0)
	v_cmp_lt_i32_e32 vcc, v17, v1
	v_cndmask_b32_e32 v9, v9, v21, vcc
	v_cndmask_b32_e32 v8, v8, v20, vcc
	;; [unrolled: 1-line block ×4, first 2 shown]
	v_cmp_ge_i64_e32 vcc, v[8:9], v[14:15]
	s_or_b64 s[18:19], vcc, s[18:19]
	s_andn2_b64 exec, exec, s[18:19]
	s_cbranch_execnz .LBB26_19
; %bb.20:
	s_or_b64 exec, exec, s[18:19]
.LBB26_21:
	s_or_b64 exec, exec, s[0:1]
	v_cmp_lt_i64_e32 vcc, 0, v[12:13]
	v_pk_mov_b32 v[14:15], 0, 0
	v_pk_mov_b32 v[16:17], v[12:13], v[12:13] op_sel:[0,1]
	s_and_saveexec_b64 s[0:1], vcc
	s_cbranch_execnz .LBB26_26
; %bb.22:
	s_or_b64 exec, exec, s[0:1]
	v_cmp_lt_i64_e32 vcc, v[14:15], v[16:17]
	s_and_saveexec_b64 s[0:1], vcc
	s_cbranch_execnz .LBB26_27
.LBB26_23:
	s_or_b64 exec, exec, s[0:1]
	v_cmp_lt_i64_e32 vcc, v[14:15], v[16:17]
	s_and_saveexec_b64 s[0:1], vcc
	s_cbranch_execnz .LBB26_28
.LBB26_24:
	s_or_b64 exec, exec, s[0:1]
	v_cmp_lt_i64_e32 vcc, v[14:15], v[16:17]
	s_and_saveexec_b64 s[0:1], vcc
	s_cbranch_execnz .LBB26_29
.LBB26_25:
	s_or_b64 exec, exec, s[0:1]
	v_cmp_lt_i64_e32 vcc, v[14:15], v[16:17]
	s_and_saveexec_b64 s[0:1], vcc
	s_cbranch_execnz .LBB26_30
	s_branch .LBB26_33
.LBB26_26:
	s_movk_i32 s21, 0x1ff
	v_mad_u64_u32 v[14:15], s[18:19], v12, s21, 0
	v_mov_b32_e32 v16, v15
	v_mad_u64_u32 v[16:17], s[18:19], v13, s21, v[16:17]
	v_mov_b32_e32 v15, v16
	v_lshrrev_b64 v[16:17], 9, v[14:15]
	v_lshlrev_b64 v[14:15], 2, v[16:17]
	v_mov_b32_e32 v18, s3
	v_add_co_u32_e32 v14, vcc, s2, v14
	v_addc_co_u32_e32 v15, vcc, v18, v15, vcc
	global_load_dword v14, v[14:15], off
	v_add_co_u32_e32 v18, vcc, 1, v16
	v_addc_co_u32_e32 v15, vcc, 0, v17, vcc
	s_waitcnt vmcnt(0)
	v_cmp_lt_i32_e32 vcc, v14, v1
	v_cndmask_b32_e32 v15, 0, v15, vcc
	v_cndmask_b32_e32 v14, 0, v18, vcc
	;; [unrolled: 1-line block ×4, first 2 shown]
	s_or_b64 exec, exec, s[0:1]
	v_cmp_lt_i64_e32 vcc, v[14:15], v[16:17]
	s_and_saveexec_b64 s[0:1], vcc
	s_cbranch_execz .LBB26_23
.LBB26_27:
	s_movk_i32 s21, 0x7f
	v_mad_u64_u32 v[18:19], s[18:19], v16, s21, v[14:15]
	v_mov_b32_e32 v20, v19
	v_mad_u64_u32 v[20:21], s[18:19], v17, s21, v[20:21]
	v_mov_b32_e32 v19, v20
	v_lshrrev_b64 v[18:19], 7, v[18:19]
	v_lshlrev_b64 v[20:21], 2, v[18:19]
	v_mov_b32_e32 v22, s3
	v_add_co_u32_e32 v20, vcc, s2, v20
	v_addc_co_u32_e32 v21, vcc, v22, v21, vcc
	global_load_dword v20, v[20:21], off
	v_add_co_u32_e32 v21, vcc, 1, v18
	v_addc_co_u32_e32 v22, vcc, 0, v19, vcc
	s_waitcnt vmcnt(0)
	v_cmp_lt_i32_e32 vcc, v20, v1
	v_cndmask_b32_e32 v15, v15, v22, vcc
	v_cndmask_b32_e32 v14, v14, v21, vcc
	;; [unrolled: 1-line block ×4, first 2 shown]
	s_or_b64 exec, exec, s[0:1]
	v_cmp_lt_i64_e32 vcc, v[14:15], v[16:17]
	s_and_saveexec_b64 s[0:1], vcc
	s_cbranch_execz .LBB26_24
.LBB26_28:
	v_mad_u64_u32 v[18:19], s[18:19], v16, 31, v[14:15]
	v_mov_b32_e32 v20, v19
	v_mad_u64_u32 v[20:21], s[18:19], v17, 31, v[20:21]
	v_mov_b32_e32 v19, v20
	v_lshrrev_b64 v[18:19], 5, v[18:19]
	v_lshlrev_b64 v[20:21], 2, v[18:19]
	v_mov_b32_e32 v22, s3
	v_add_co_u32_e32 v20, vcc, s2, v20
	v_addc_co_u32_e32 v21, vcc, v22, v21, vcc
	global_load_dword v20, v[20:21], off
	v_add_co_u32_e32 v21, vcc, 1, v18
	v_addc_co_u32_e32 v22, vcc, 0, v19, vcc
	s_waitcnt vmcnt(0)
	v_cmp_lt_i32_e32 vcc, v20, v1
	v_cndmask_b32_e32 v15, v15, v22, vcc
	v_cndmask_b32_e32 v14, v14, v21, vcc
	;; [unrolled: 1-line block ×4, first 2 shown]
	s_or_b64 exec, exec, s[0:1]
	v_cmp_lt_i64_e32 vcc, v[14:15], v[16:17]
	s_and_saveexec_b64 s[0:1], vcc
	s_cbranch_execz .LBB26_25
.LBB26_29:
	v_mad_u64_u32 v[18:19], s[18:19], v16, 15, v[14:15]
	v_mov_b32_e32 v20, v19
	v_mad_u64_u32 v[20:21], s[18:19], v17, 15, v[20:21]
	v_mov_b32_e32 v19, v20
	v_lshrrev_b64 v[18:19], 4, v[18:19]
	v_lshlrev_b64 v[20:21], 2, v[18:19]
	v_mov_b32_e32 v22, s3
	v_add_co_u32_e32 v20, vcc, s2, v20
	v_addc_co_u32_e32 v21, vcc, v22, v21, vcc
	global_load_dword v20, v[20:21], off
	v_add_co_u32_e32 v21, vcc, 1, v18
	v_addc_co_u32_e32 v22, vcc, 0, v19, vcc
	s_waitcnt vmcnt(0)
	v_cmp_lt_i32_e32 vcc, v20, v1
	v_cndmask_b32_e32 v15, v15, v22, vcc
	v_cndmask_b32_e32 v14, v14, v21, vcc
	;; [unrolled: 1-line block ×4, first 2 shown]
	s_or_b64 exec, exec, s[0:1]
	v_cmp_lt_i64_e32 vcc, v[14:15], v[16:17]
	s_and_saveexec_b64 s[0:1], vcc
	s_cbranch_execz .LBB26_33
.LBB26_30:
	s_mov_b64 s[18:19], 0
	v_mov_b32_e32 v18, s3
.LBB26_31:                              ; =>This Inner Loop Header: Depth=1
	v_add_co_u32_e32 v20, vcc, v14, v16
	v_addc_co_u32_e32 v21, vcc, v15, v17, vcc
	v_ashrrev_i64 v[20:21], 1, v[20:21]
	v_lshlrev_b64 v[22:23], 2, v[20:21]
	v_add_co_u32_e32 v22, vcc, s2, v22
	v_addc_co_u32_e32 v23, vcc, v18, v23, vcc
	global_load_dword v19, v[22:23], off
	v_add_co_u32_e32 v22, vcc, 1, v20
	v_addc_co_u32_e32 v23, vcc, 0, v21, vcc
	s_waitcnt vmcnt(0)
	v_cmp_lt_i32_e32 vcc, v19, v1
	v_cndmask_b32_e32 v15, v15, v23, vcc
	v_cndmask_b32_e32 v14, v14, v22, vcc
	;; [unrolled: 1-line block ×4, first 2 shown]
	v_cmp_ge_i64_e32 vcc, v[14:15], v[16:17]
	s_or_b64 s[18:19], vcc, s[18:19]
	s_andn2_b64 exec, exec, s[18:19]
	s_cbranch_execnz .LBB26_31
; %bb.32:
	s_or_b64 exec, exec, s[18:19]
.LBB26_33:
	s_or_b64 exec, exec, s[0:1]
	v_sub_co_u32_e32 v2, vcc, v2, v8
	v_subb_co_u32_e32 v3, vcc, v3, v9, vcc
	v_sub_co_u32_e32 v18, vcc, v12, v14
	v_subb_co_u32_e32 v19, vcc, v13, v15, vcc
	v_add_co_u32_e32 v16, vcc, v18, v2
	v_addc_co_u32_e32 v17, vcc, v19, v3, vcc
	v_ashrrev_i64 v[2:3], 1, v[16:17]
	v_cmp_gt_i64_e32 vcc, v[2:3], v[18:19]
	v_cndmask_b32_e32 v2, v18, v2, vcc
	v_cndmask_b32_e32 v3, v19, v3, vcc
	v_add_co_u32_e32 v14, vcc, v14, v2
	v_addc_co_u32_e32 v15, vcc, v15, v3, vcc
	v_add_co_u32_e32 v14, vcc, 1, v14
	v_addc_co_u32_e32 v15, vcc, 0, v15, vcc
	v_mov_b32_e32 v20, s11
	v_cmp_gt_i64_e32 vcc, s[10:11], v[14:15]
	v_cndmask_b32_e32 v15, v20, v15, vcc
	v_mov_b32_e32 v20, s10
	v_cndmask_b32_e32 v14, v20, v14, vcc
	v_sub_co_u32_e32 v14, vcc, v14, v12
	v_subb_co_u32_e32 v15, vcc, v15, v13, vcc
	s_mov_b64 s[18:19], 0
	v_cmp_lt_i64_e32 vcc, 0, v[14:15]
	v_pk_mov_b32 v[12:13], 0, 0
	s_and_saveexec_b64 s[0:1], vcc
	s_cbranch_execz .LBB26_37
; %bb.34:
	v_pk_mov_b32 v[12:13], 0, 0
.LBB26_35:                              ; =>This Inner Loop Header: Depth=1
	v_add_co_u32_e32 v20, vcc, v12, v14
	v_addc_co_u32_e32 v21, vcc, v13, v15, vcc
	v_ashrrev_i64 v[20:21], 1, v[20:21]
	v_lshlrev_b64 v[22:23], 2, v[20:21]
	v_add_co_u32_e32 v22, vcc, v10, v22
	v_addc_co_u32_e32 v23, vcc, v11, v23, vcc
	global_load_dword v22, v[22:23], off
	v_add_co_u32_e32 v23, vcc, 1, v20
	v_addc_co_u32_e32 v24, vcc, 0, v21, vcc
	s_waitcnt vmcnt(0)
	v_cmp_gt_i32_e32 vcc, v22, v1
	v_cndmask_b32_e32 v13, v24, v13, vcc
	v_cndmask_b32_e32 v12, v23, v12, vcc
	;; [unrolled: 1-line block ×4, first 2 shown]
	v_cmp_ge_i64_e32 vcc, v[12:13], v[14:15]
	s_or_b64 s[18:19], vcc, s[18:19]
	s_andn2_b64 exec, exec, s[18:19]
	s_cbranch_execnz .LBB26_35
; %bb.36:
	s_or_b64 exec, exec, s[18:19]
	v_ashrrev_i32_e32 v13, 31, v12
.LBB26_37:
	s_or_b64 exec, exec, s[0:1]
	v_add_co_u32_e32 v10, vcc, v12, v18
	v_addc_co_u32_e32 v11, vcc, v13, v19, vcc
	v_cmp_lt_i64_e32 vcc, v[10:11], v[2:3]
	v_cndmask_b32_e32 v14, v2, v10, vcc
	s_waitcnt vmcnt(0)
	v_cndmask_b32_e32 v1, v3, v11, vcc
	v_sub_co_u32_e32 v12, vcc, v16, v14
	v_subb_co_u32_e32 v13, vcc, v17, v1, vcc
	v_add_co_u32_e32 v14, vcc, 1, v14
	v_addc_co_u32_e32 v15, vcc, 0, v1, vcc
	v_cmp_eq_u64_e32 vcc, v[12:13], v[14:15]
	v_cmp_lt_i64_e64 s[0:1], v[2:3], v[10:11]
	s_and_b64 s[0:1], vcc, s[0:1]
	v_cndmask_b32_e64 v10, 0, 1, s[0:1]
	s_mov_b32 s0, 0
	v_add_co_u32_e32 v2, vcc, v12, v8
	v_mov_b32_e32 v11, s0
	v_addc_co_u32_e32 v3, vcc, v13, v9, vcc
.LBB26_38:
	s_or_b64 exec, exec, s[16:17]
	v_add_co_u32_e32 v1, vcc, v10, v4
	v_addc_co_u32_e32 v5, vcc, v11, v5, vcc
	v_sub_co_u32_e32 v4, vcc, v1, v2
	s_mov_b64 s[0:1], exec
	v_subb_co_u32_e32 v5, vcc, v5, v3, vcc
	s_or_b64 exec, exec, s[6:7]
	s_and_b64 vcc, exec, s[4:5]
	s_cbranch_vccz .LBB26_74
.LBB26_39:
	v_add_u32_e32 v6, s20, v0
	s_movk_i32 s0, 0xfff
	v_mad_u64_u32 v[0:1], s[0:1], v6, s0, 0
	s_add_u32 s0, s10, s8
	s_addc_u32 s1, s11, s9
	v_mov_b32_e32 v2, s1
	v_cmp_lt_i64_e32 vcc, s[0:1], v[0:1]
	v_cndmask_b32_e32 v1, v1, v2, vcc
	v_mov_b32_e32 v2, s0
	v_cndmask_b32_e32 v0, v0, v2, vcc
	v_mov_b32_e32 v3, s11
	v_subrev_co_u32_e32 v2, vcc, s10, v0
	v_subb_co_u32_e32 v3, vcc, v1, v3, vcc
	v_cmp_lt_i64_e32 vcc, 0, v[2:3]
	v_cndmask_b32_e32 v3, 0, v3, vcc
	v_cndmask_b32_e32 v2, 0, v2, vcc
	v_mov_b32_e32 v4, s9
	v_cmp_lt_i64_e32 vcc, s[8:9], v[0:1]
	v_cndmask_b32_e32 v5, v1, v4, vcc
	v_mov_b32_e32 v4, s8
	v_cndmask_b32_e32 v4, v0, v4, vcc
	v_mov_b32_e32 v7, 0
	s_mov_b64 s[0:1], 0
	v_cmp_lt_i64_e32 vcc, v[2:3], v[4:5]
	s_and_saveexec_b64 s[4:5], vcc
	s_cbranch_execz .LBB26_43
; %bb.40:
	v_lshlrev_b64 v[8:9], 2, v[0:1]
	v_mov_b32_e32 v10, s3
	v_add_co_u32_e32 v8, vcc, s2, v8
	v_addc_co_u32_e32 v9, vcc, v10, v9, vcc
	v_mov_b32_e32 v10, s15
.LBB26_41:                              ; =>This Inner Loop Header: Depth=1
	v_add_co_u32_e32 v12, vcc, v4, v2
	v_addc_co_u32_e32 v13, vcc, v5, v3, vcc
	v_ashrrev_i64 v[12:13], 1, v[12:13]
	v_lshlrev_b64 v[14:15], 2, v[12:13]
	v_not_b32_e32 v17, v13
	v_not_b32_e32 v16, v12
	v_add_co_u32_e32 v14, vcc, s14, v14
	v_addc_co_u32_e32 v15, vcc, v10, v15, vcc
	v_lshlrev_b64 v[16:17], 2, v[16:17]
	global_load_dword v11, v[14:15], off
	v_add_co_u32_e32 v14, vcc, v8, v16
	v_addc_co_u32_e32 v15, vcc, v9, v17, vcc
	global_load_dword v14, v[14:15], off
	v_add_co_u32_e32 v15, vcc, 1, v12
	v_addc_co_u32_e32 v16, vcc, 0, v13, vcc
	s_waitcnt vmcnt(0)
	v_cmp_lt_i32_e32 vcc, v14, v11
	v_cndmask_b32_e32 v5, v5, v13, vcc
	v_cndmask_b32_e32 v4, v4, v12, vcc
	;; [unrolled: 1-line block ×4, first 2 shown]
	v_cmp_ge_i64_e32 vcc, v[2:3], v[4:5]
	s_or_b64 s[0:1], vcc, s[0:1]
	s_andn2_b64 exec, exec, s[0:1]
	s_cbranch_execnz .LBB26_41
; %bb.42:
	s_or_b64 exec, exec, s[0:1]
.LBB26_43:
	s_or_b64 exec, exec, s[4:5]
	v_sub_co_u32_e32 v10, vcc, v0, v2
	v_subb_co_u32_e32 v11, vcc, v1, v3, vcc
	v_cmp_gt_i64_e32 vcc, s[10:11], v[10:11]
	v_pk_mov_b32 v[8:9], 0, 0
	s_and_saveexec_b64 s[4:5], vcc
	s_cbranch_execz .LBB26_73
; %bb.44:
	v_lshlrev_b64 v[4:5], 2, v[10:11]
	v_mov_b32_e32 v9, s3
	v_add_co_u32_e32 v8, vcc, s2, v4
	v_addc_co_u32_e32 v9, vcc, v9, v5, vcc
	global_load_dword v18, v[8:9], off
	v_cmp_lt_i64_e32 vcc, 0, v[2:3]
	v_pk_mov_b32 v[4:5], 0, 0
	v_pk_mov_b32 v[12:13], v[2:3], v[2:3] op_sel:[0,1]
	s_and_saveexec_b64 s[0:1], vcc
	s_cbranch_execnz .LBB26_49
; %bb.45:
	s_or_b64 exec, exec, s[0:1]
	v_cmp_lt_i64_e32 vcc, v[4:5], v[12:13]
	s_and_saveexec_b64 s[0:1], vcc
	s_cbranch_execnz .LBB26_50
.LBB26_46:
	s_or_b64 exec, exec, s[0:1]
	v_cmp_lt_i64_e32 vcc, v[4:5], v[12:13]
	s_and_saveexec_b64 s[0:1], vcc
	s_cbranch_execnz .LBB26_51
.LBB26_47:
	s_or_b64 exec, exec, s[0:1]
	v_cmp_lt_i64_e32 vcc, v[4:5], v[12:13]
	s_and_saveexec_b64 s[0:1], vcc
	s_cbranch_execnz .LBB26_52
.LBB26_48:
	s_or_b64 exec, exec, s[0:1]
	v_cmp_lt_i64_e32 vcc, v[4:5], v[12:13]
	s_and_saveexec_b64 s[0:1], vcc
	s_cbranch_execnz .LBB26_53
	s_branch .LBB26_56
.LBB26_49:
	s_movk_i32 s8, 0x1ff
	v_mad_u64_u32 v[4:5], s[6:7], v2, s8, 0
	v_mov_b32_e32 v12, v5
	v_mad_u64_u32 v[12:13], s[6:7], v3, s8, v[12:13]
	v_mov_b32_e32 v5, v12
	v_lshrrev_b64 v[12:13], 9, v[4:5]
	v_lshlrev_b64 v[4:5], 2, v[12:13]
	v_mov_b32_e32 v14, s15
	v_add_co_u32_e32 v4, vcc, s14, v4
	v_addc_co_u32_e32 v5, vcc, v14, v5, vcc
	global_load_dword v4, v[4:5], off
	v_add_co_u32_e32 v14, vcc, 1, v12
	v_addc_co_u32_e32 v5, vcc, 0, v13, vcc
	s_waitcnt vmcnt(0)
	v_cmp_lt_i32_e32 vcc, v4, v18
	v_cndmask_b32_e32 v5, 0, v5, vcc
	v_cndmask_b32_e32 v4, 0, v14, vcc
	;; [unrolled: 1-line block ×4, first 2 shown]
	s_or_b64 exec, exec, s[0:1]
	v_cmp_lt_i64_e32 vcc, v[4:5], v[12:13]
	s_and_saveexec_b64 s[0:1], vcc
	s_cbranch_execz .LBB26_46
.LBB26_50:
	s_movk_i32 s8, 0x7f
	v_mad_u64_u32 v[14:15], s[6:7], v12, s8, v[4:5]
	v_mov_b32_e32 v16, v15
	v_mad_u64_u32 v[16:17], s[6:7], v13, s8, v[16:17]
	v_mov_b32_e32 v15, v16
	v_lshrrev_b64 v[14:15], 7, v[14:15]
	v_lshlrev_b64 v[16:17], 2, v[14:15]
	v_mov_b32_e32 v19, s15
	v_add_co_u32_e32 v16, vcc, s14, v16
	v_addc_co_u32_e32 v17, vcc, v19, v17, vcc
	global_load_dword v16, v[16:17], off
	v_add_co_u32_e32 v17, vcc, 1, v14
	v_addc_co_u32_e32 v19, vcc, 0, v15, vcc
	s_waitcnt vmcnt(0)
	v_cmp_lt_i32_e32 vcc, v16, v18
	v_cndmask_b32_e32 v5, v5, v19, vcc
	v_cndmask_b32_e32 v4, v4, v17, vcc
	;; [unrolled: 1-line block ×4, first 2 shown]
	s_or_b64 exec, exec, s[0:1]
	v_cmp_lt_i64_e32 vcc, v[4:5], v[12:13]
	s_and_saveexec_b64 s[0:1], vcc
	s_cbranch_execz .LBB26_47
.LBB26_51:
	v_mad_u64_u32 v[14:15], s[6:7], v12, 31, v[4:5]
	v_mov_b32_e32 v16, v15
	v_mad_u64_u32 v[16:17], s[6:7], v13, 31, v[16:17]
	v_mov_b32_e32 v15, v16
	v_lshrrev_b64 v[14:15], 5, v[14:15]
	v_lshlrev_b64 v[16:17], 2, v[14:15]
	v_mov_b32_e32 v19, s15
	v_add_co_u32_e32 v16, vcc, s14, v16
	v_addc_co_u32_e32 v17, vcc, v19, v17, vcc
	global_load_dword v16, v[16:17], off
	v_add_co_u32_e32 v17, vcc, 1, v14
	v_addc_co_u32_e32 v19, vcc, 0, v15, vcc
	s_waitcnt vmcnt(0)
	v_cmp_lt_i32_e32 vcc, v16, v18
	v_cndmask_b32_e32 v5, v5, v19, vcc
	v_cndmask_b32_e32 v4, v4, v17, vcc
	;; [unrolled: 1-line block ×4, first 2 shown]
	s_or_b64 exec, exec, s[0:1]
	v_cmp_lt_i64_e32 vcc, v[4:5], v[12:13]
	s_and_saveexec_b64 s[0:1], vcc
	s_cbranch_execz .LBB26_48
.LBB26_52:
	v_mad_u64_u32 v[14:15], s[6:7], v12, 15, v[4:5]
	v_mov_b32_e32 v16, v15
	v_mad_u64_u32 v[16:17], s[6:7], v13, 15, v[16:17]
	v_mov_b32_e32 v15, v16
	v_lshrrev_b64 v[14:15], 4, v[14:15]
	v_lshlrev_b64 v[16:17], 2, v[14:15]
	v_mov_b32_e32 v19, s15
	v_add_co_u32_e32 v16, vcc, s14, v16
	v_addc_co_u32_e32 v17, vcc, v19, v17, vcc
	global_load_dword v16, v[16:17], off
	v_add_co_u32_e32 v17, vcc, 1, v14
	v_addc_co_u32_e32 v19, vcc, 0, v15, vcc
	s_waitcnt vmcnt(0)
	v_cmp_lt_i32_e32 vcc, v16, v18
	v_cndmask_b32_e32 v5, v5, v19, vcc
	v_cndmask_b32_e32 v4, v4, v17, vcc
	;; [unrolled: 1-line block ×4, first 2 shown]
	s_or_b64 exec, exec, s[0:1]
	v_cmp_lt_i64_e32 vcc, v[4:5], v[12:13]
	s_and_saveexec_b64 s[0:1], vcc
	s_cbranch_execz .LBB26_56
.LBB26_53:
	s_mov_b64 s[6:7], 0
	v_mov_b32_e32 v14, s15
.LBB26_54:                              ; =>This Inner Loop Header: Depth=1
	v_add_co_u32_e32 v16, vcc, v4, v12
	v_addc_co_u32_e32 v17, vcc, v5, v13, vcc
	v_ashrrev_i64 v[16:17], 1, v[16:17]
	v_lshlrev_b64 v[20:21], 2, v[16:17]
	v_add_co_u32_e32 v20, vcc, s14, v20
	v_addc_co_u32_e32 v21, vcc, v14, v21, vcc
	global_load_dword v15, v[20:21], off
	v_add_co_u32_e32 v19, vcc, 1, v16
	v_addc_co_u32_e32 v20, vcc, 0, v17, vcc
	s_waitcnt vmcnt(0)
	v_cmp_lt_i32_e32 vcc, v15, v18
	v_cndmask_b32_e32 v5, v5, v20, vcc
	v_cndmask_b32_e32 v4, v4, v19, vcc
	v_cndmask_b32_e32 v13, v17, v13, vcc
	v_cndmask_b32_e32 v12, v16, v12, vcc
	v_cmp_ge_i64_e32 vcc, v[4:5], v[12:13]
	s_or_b64 s[6:7], vcc, s[6:7]
	s_andn2_b64 exec, exec, s[6:7]
	s_cbranch_execnz .LBB26_54
; %bb.55:
	s_or_b64 exec, exec, s[6:7]
.LBB26_56:
	s_or_b64 exec, exec, s[0:1]
	v_cmp_lt_i64_e32 vcc, 0, v[10:11]
	v_pk_mov_b32 v[12:13], 0, 0
	v_pk_mov_b32 v[14:15], v[10:11], v[10:11] op_sel:[0,1]
	s_and_saveexec_b64 s[0:1], vcc
	s_cbranch_execnz .LBB26_61
; %bb.57:
	s_or_b64 exec, exec, s[0:1]
	v_cmp_lt_i64_e32 vcc, v[12:13], v[14:15]
	s_and_saveexec_b64 s[0:1], vcc
	s_cbranch_execnz .LBB26_62
.LBB26_58:
	s_or_b64 exec, exec, s[0:1]
	v_cmp_lt_i64_e32 vcc, v[12:13], v[14:15]
	s_and_saveexec_b64 s[0:1], vcc
	s_cbranch_execnz .LBB26_63
.LBB26_59:
	s_or_b64 exec, exec, s[0:1]
	v_cmp_lt_i64_e32 vcc, v[12:13], v[14:15]
	s_and_saveexec_b64 s[0:1], vcc
	s_cbranch_execnz .LBB26_64
.LBB26_60:
	s_or_b64 exec, exec, s[0:1]
	v_cmp_lt_i64_e32 vcc, v[12:13], v[14:15]
	s_and_saveexec_b64 s[0:1], vcc
	s_cbranch_execnz .LBB26_65
	s_branch .LBB26_68
.LBB26_61:
	s_movk_i32 s8, 0x1ff
	v_mad_u64_u32 v[12:13], s[6:7], v10, s8, 0
	v_mov_b32_e32 v14, v13
	v_mad_u64_u32 v[14:15], s[6:7], v11, s8, v[14:15]
	v_mov_b32_e32 v13, v14
	v_lshrrev_b64 v[14:15], 9, v[12:13]
	v_lshlrev_b64 v[12:13], 2, v[14:15]
	v_mov_b32_e32 v16, s3
	v_add_co_u32_e32 v12, vcc, s2, v12
	v_addc_co_u32_e32 v13, vcc, v16, v13, vcc
	global_load_dword v12, v[12:13], off
	v_add_co_u32_e32 v16, vcc, 1, v14
	v_addc_co_u32_e32 v13, vcc, 0, v15, vcc
	s_waitcnt vmcnt(0)
	v_cmp_lt_i32_e32 vcc, v12, v18
	v_cndmask_b32_e32 v13, 0, v13, vcc
	v_cndmask_b32_e32 v12, 0, v16, vcc
	v_cndmask_b32_e32 v15, v15, v11, vcc
	v_cndmask_b32_e32 v14, v14, v10, vcc
	s_or_b64 exec, exec, s[0:1]
	v_cmp_lt_i64_e32 vcc, v[12:13], v[14:15]
	s_and_saveexec_b64 s[0:1], vcc
	s_cbranch_execz .LBB26_58
.LBB26_62:
	s_movk_i32 s8, 0x7f
	v_mad_u64_u32 v[16:17], s[6:7], v14, s8, v[12:13]
	v_mov_b32_e32 v20, v17
	v_mad_u64_u32 v[20:21], s[6:7], v15, s8, v[20:21]
	v_mov_b32_e32 v17, v20
	v_lshrrev_b64 v[16:17], 7, v[16:17]
	v_lshlrev_b64 v[20:21], 2, v[16:17]
	v_mov_b32_e32 v19, s3
	v_add_co_u32_e32 v20, vcc, s2, v20
	v_addc_co_u32_e32 v21, vcc, v19, v21, vcc
	global_load_dword v19, v[20:21], off
	v_add_co_u32_e32 v20, vcc, 1, v16
	v_addc_co_u32_e32 v21, vcc, 0, v17, vcc
	s_waitcnt vmcnt(0)
	v_cmp_lt_i32_e32 vcc, v19, v18
	v_cndmask_b32_e32 v13, v13, v21, vcc
	v_cndmask_b32_e32 v12, v12, v20, vcc
	;; [unrolled: 1-line block ×4, first 2 shown]
	s_or_b64 exec, exec, s[0:1]
	v_cmp_lt_i64_e32 vcc, v[12:13], v[14:15]
	s_and_saveexec_b64 s[0:1], vcc
	s_cbranch_execz .LBB26_59
.LBB26_63:
	v_mad_u64_u32 v[16:17], s[6:7], v14, 31, v[12:13]
	v_mov_b32_e32 v20, v17
	v_mad_u64_u32 v[20:21], s[6:7], v15, 31, v[20:21]
	v_mov_b32_e32 v17, v20
	v_lshrrev_b64 v[16:17], 5, v[16:17]
	v_lshlrev_b64 v[20:21], 2, v[16:17]
	v_mov_b32_e32 v19, s3
	v_add_co_u32_e32 v20, vcc, s2, v20
	v_addc_co_u32_e32 v21, vcc, v19, v21, vcc
	global_load_dword v19, v[20:21], off
	v_add_co_u32_e32 v20, vcc, 1, v16
	v_addc_co_u32_e32 v21, vcc, 0, v17, vcc
	s_waitcnt vmcnt(0)
	v_cmp_lt_i32_e32 vcc, v19, v18
	v_cndmask_b32_e32 v13, v13, v21, vcc
	v_cndmask_b32_e32 v12, v12, v20, vcc
	;; [unrolled: 1-line block ×4, first 2 shown]
	s_or_b64 exec, exec, s[0:1]
	v_cmp_lt_i64_e32 vcc, v[12:13], v[14:15]
	s_and_saveexec_b64 s[0:1], vcc
	s_cbranch_execz .LBB26_60
.LBB26_64:
	v_mad_u64_u32 v[16:17], s[6:7], v14, 15, v[12:13]
	v_mov_b32_e32 v20, v17
	v_mad_u64_u32 v[20:21], s[6:7], v15, 15, v[20:21]
	v_mov_b32_e32 v17, v20
	v_lshrrev_b64 v[16:17], 4, v[16:17]
	v_lshlrev_b64 v[20:21], 2, v[16:17]
	v_mov_b32_e32 v19, s3
	v_add_co_u32_e32 v20, vcc, s2, v20
	v_addc_co_u32_e32 v21, vcc, v19, v21, vcc
	global_load_dword v19, v[20:21], off
	v_add_co_u32_e32 v20, vcc, 1, v16
	v_addc_co_u32_e32 v21, vcc, 0, v17, vcc
	s_waitcnt vmcnt(0)
	v_cmp_lt_i32_e32 vcc, v19, v18
	v_cndmask_b32_e32 v13, v13, v21, vcc
	v_cndmask_b32_e32 v12, v12, v20, vcc
	v_cndmask_b32_e32 v15, v17, v15, vcc
	v_cndmask_b32_e32 v14, v16, v14, vcc
	s_or_b64 exec, exec, s[0:1]
	v_cmp_lt_i64_e32 vcc, v[12:13], v[14:15]
	s_and_saveexec_b64 s[0:1], vcc
	s_cbranch_execz .LBB26_68
.LBB26_65:
	s_mov_b64 s[6:7], 0
	v_mov_b32_e32 v16, s3
.LBB26_66:                              ; =>This Inner Loop Header: Depth=1
	v_add_co_u32_e32 v20, vcc, v12, v14
	v_addc_co_u32_e32 v21, vcc, v13, v15, vcc
	v_ashrrev_i64 v[20:21], 1, v[20:21]
	v_lshlrev_b64 v[22:23], 2, v[20:21]
	v_add_co_u32_e32 v22, vcc, s2, v22
	v_addc_co_u32_e32 v23, vcc, v16, v23, vcc
	global_load_dword v17, v[22:23], off
	v_add_co_u32_e32 v19, vcc, 1, v20
	v_addc_co_u32_e32 v22, vcc, 0, v21, vcc
	s_waitcnt vmcnt(0)
	v_cmp_lt_i32_e32 vcc, v17, v18
	v_cndmask_b32_e32 v13, v13, v22, vcc
	v_cndmask_b32_e32 v12, v12, v19, vcc
	;; [unrolled: 1-line block ×4, first 2 shown]
	v_cmp_ge_i64_e32 vcc, v[12:13], v[14:15]
	s_or_b64 s[6:7], vcc, s[6:7]
	s_andn2_b64 exec, exec, s[6:7]
	s_cbranch_execnz .LBB26_66
; %bb.67:
	s_or_b64 exec, exec, s[6:7]
.LBB26_68:
	s_or_b64 exec, exec, s[0:1]
	v_sub_co_u32_e32 v2, vcc, v2, v4
	v_subb_co_u32_e32 v3, vcc, v3, v5, vcc
	v_sub_co_u32_e32 v16, vcc, v10, v12
	v_subb_co_u32_e32 v17, vcc, v11, v13, vcc
	v_add_co_u32_e32 v14, vcc, v16, v2
	v_addc_co_u32_e32 v15, vcc, v17, v3, vcc
	v_ashrrev_i64 v[2:3], 1, v[14:15]
	v_cmp_gt_i64_e32 vcc, v[2:3], v[16:17]
	v_cndmask_b32_e32 v2, v16, v2, vcc
	v_cndmask_b32_e32 v3, v17, v3, vcc
	v_add_co_u32_e32 v12, vcc, v12, v2
	v_addc_co_u32_e32 v13, vcc, v13, v3, vcc
	v_add_co_u32_e32 v12, vcc, 1, v12
	v_addc_co_u32_e32 v13, vcc, 0, v13, vcc
	v_mov_b32_e32 v19, s11
	v_cmp_gt_i64_e32 vcc, s[10:11], v[12:13]
	v_cndmask_b32_e32 v13, v19, v13, vcc
	v_mov_b32_e32 v19, s10
	v_cndmask_b32_e32 v12, v19, v12, vcc
	v_sub_co_u32_e32 v12, vcc, v12, v10
	v_subb_co_u32_e32 v13, vcc, v13, v11, vcc
	s_mov_b64 s[2:3], 0
	v_cmp_lt_i64_e32 vcc, 0, v[12:13]
	v_pk_mov_b32 v[10:11], 0, 0
	s_and_saveexec_b64 s[0:1], vcc
	s_cbranch_execz .LBB26_72
; %bb.69:
	v_pk_mov_b32 v[10:11], 0, 0
.LBB26_70:                              ; =>This Inner Loop Header: Depth=1
	v_add_co_u32_e32 v20, vcc, v10, v12
	v_addc_co_u32_e32 v21, vcc, v11, v13, vcc
	v_ashrrev_i64 v[20:21], 1, v[20:21]
	v_lshlrev_b64 v[22:23], 2, v[20:21]
	v_add_co_u32_e32 v22, vcc, v8, v22
	v_addc_co_u32_e32 v23, vcc, v9, v23, vcc
	global_load_dword v19, v[22:23], off
	v_add_co_u32_e32 v22, vcc, 1, v20
	v_addc_co_u32_e32 v23, vcc, 0, v21, vcc
	s_waitcnt vmcnt(0)
	v_cmp_gt_i32_e32 vcc, v19, v18
	v_cndmask_b32_e32 v11, v23, v11, vcc
	v_cndmask_b32_e32 v10, v22, v10, vcc
	;; [unrolled: 1-line block ×4, first 2 shown]
	v_cmp_ge_i64_e32 vcc, v[10:11], v[12:13]
	s_or_b64 s[2:3], vcc, s[2:3]
	s_andn2_b64 exec, exec, s[2:3]
	s_cbranch_execnz .LBB26_70
; %bb.71:
	s_or_b64 exec, exec, s[2:3]
	v_ashrrev_i32_e32 v11, 31, v10
.LBB26_72:
	s_or_b64 exec, exec, s[0:1]
	v_add_co_u32_e32 v8, vcc, v10, v16
	v_addc_co_u32_e32 v9, vcc, v11, v17, vcc
	v_cmp_lt_i64_e32 vcc, v[8:9], v[2:3]
	v_cndmask_b32_e32 v12, v2, v8, vcc
	v_cndmask_b32_e32 v13, v3, v9, vcc
	v_sub_co_u32_e32 v10, vcc, v14, v12
	v_subb_co_u32_e32 v11, vcc, v15, v13, vcc
	v_add_co_u32_e32 v12, vcc, 1, v12
	v_addc_co_u32_e32 v13, vcc, 0, v13, vcc
	v_cmp_eq_u64_e32 vcc, v[10:11], v[12:13]
	v_cmp_lt_i64_e64 s[0:1], v[2:3], v[8:9]
	s_and_b64 s[0:1], vcc, s[0:1]
	v_cndmask_b32_e64 v8, 0, 1, s[0:1]
	s_mov_b32 s0, 0
	v_add_co_u32_e32 v2, vcc, v10, v4
	v_mov_b32_e32 v9, s0
	v_addc_co_u32_e32 v3, vcc, v11, v5, vcc
.LBB26_73:
	s_or_b64 exec, exec, s[4:5]
	v_add_co_u32_e32 v0, vcc, v8, v0
	v_addc_co_u32_e32 v1, vcc, v9, v1, vcc
	v_sub_co_u32_e32 v4, vcc, v0, v2
	v_subb_co_u32_e32 v5, vcc, v1, v3, vcc
	s_mov_b64 s[0:1], -1
.LBB26_74:
	s_and_saveexec_b64 s[2:3], s[0:1]
	s_cbranch_execnz .LBB26_76
; %bb.75:
	s_endpgm
.LBB26_76:
	v_lshlrev_b64 v[0:1], 4, v[6:7]
	v_mov_b32_e32 v6, s13
	v_add_co_u32_e32 v0, vcc, s12, v0
	v_addc_co_u32_e32 v1, vcc, v6, v1, vcc
	global_store_dwordx4 v[0:1], v[2:5], off
	s_endpgm
	.section	.rodata,"a",@progbits
	.p2align	6, 0x0
	.amdhsa_kernel _ZN6thrust23THRUST_200600_302600_NS11hip_rocprim14__parallel_for6kernelILj256EZNS1_16__set_operations9doit_stepILb0ENS0_6detail15normal_iteratorINS0_10device_ptrIKiEEEESB_PiSC_lNS7_INS8_IiEEEESC_NS0_4lessIiEENS4_31serial_set_symmetric_differenceEEE10hipError_tPvRmT0_T1_T2_T3_T4_SP_T5_T6_PSP_T7_T8_P12ihipStream_tbEUllE_jLj1EEEvSL_SM_SM_
		.amdhsa_group_segment_fixed_size 0
		.amdhsa_private_segment_fixed_size 0
		.amdhsa_kernarg_size 56
		.amdhsa_user_sgpr_count 6
		.amdhsa_user_sgpr_private_segment_buffer 1
		.amdhsa_user_sgpr_dispatch_ptr 0
		.amdhsa_user_sgpr_queue_ptr 0
		.amdhsa_user_sgpr_kernarg_segment_ptr 1
		.amdhsa_user_sgpr_dispatch_id 0
		.amdhsa_user_sgpr_flat_scratch_init 0
		.amdhsa_user_sgpr_kernarg_preload_length 0
		.amdhsa_user_sgpr_kernarg_preload_offset 0
		.amdhsa_user_sgpr_private_segment_size 0
		.amdhsa_uses_dynamic_stack 0
		.amdhsa_system_sgpr_private_segment_wavefront_offset 0
		.amdhsa_system_sgpr_workgroup_id_x 1
		.amdhsa_system_sgpr_workgroup_id_y 0
		.amdhsa_system_sgpr_workgroup_id_z 0
		.amdhsa_system_sgpr_workgroup_info 0
		.amdhsa_system_vgpr_workitem_id 0
		.amdhsa_next_free_vgpr 25
		.amdhsa_next_free_sgpr 22
		.amdhsa_accum_offset 28
		.amdhsa_reserve_vcc 1
		.amdhsa_reserve_flat_scratch 0
		.amdhsa_float_round_mode_32 0
		.amdhsa_float_round_mode_16_64 0
		.amdhsa_float_denorm_mode_32 3
		.amdhsa_float_denorm_mode_16_64 3
		.amdhsa_dx10_clamp 1
		.amdhsa_ieee_mode 1
		.amdhsa_fp16_overflow 0
		.amdhsa_tg_split 0
		.amdhsa_exception_fp_ieee_invalid_op 0
		.amdhsa_exception_fp_denorm_src 0
		.amdhsa_exception_fp_ieee_div_zero 0
		.amdhsa_exception_fp_ieee_overflow 0
		.amdhsa_exception_fp_ieee_underflow 0
		.amdhsa_exception_fp_ieee_inexact 0
		.amdhsa_exception_int_div_zero 0
	.end_amdhsa_kernel
	.section	.text._ZN6thrust23THRUST_200600_302600_NS11hip_rocprim14__parallel_for6kernelILj256EZNS1_16__set_operations9doit_stepILb0ENS0_6detail15normal_iteratorINS0_10device_ptrIKiEEEESB_PiSC_lNS7_INS8_IiEEEESC_NS0_4lessIiEENS4_31serial_set_symmetric_differenceEEE10hipError_tPvRmT0_T1_T2_T3_T4_SP_T5_T6_PSP_T7_T8_P12ihipStream_tbEUllE_jLj1EEEvSL_SM_SM_,"axG",@progbits,_ZN6thrust23THRUST_200600_302600_NS11hip_rocprim14__parallel_for6kernelILj256EZNS1_16__set_operations9doit_stepILb0ENS0_6detail15normal_iteratorINS0_10device_ptrIKiEEEESB_PiSC_lNS7_INS8_IiEEEESC_NS0_4lessIiEENS4_31serial_set_symmetric_differenceEEE10hipError_tPvRmT0_T1_T2_T3_T4_SP_T5_T6_PSP_T7_T8_P12ihipStream_tbEUllE_jLj1EEEvSL_SM_SM_,comdat
.Lfunc_end26:
	.size	_ZN6thrust23THRUST_200600_302600_NS11hip_rocprim14__parallel_for6kernelILj256EZNS1_16__set_operations9doit_stepILb0ENS0_6detail15normal_iteratorINS0_10device_ptrIKiEEEESB_PiSC_lNS7_INS8_IiEEEESC_NS0_4lessIiEENS4_31serial_set_symmetric_differenceEEE10hipError_tPvRmT0_T1_T2_T3_T4_SP_T5_T6_PSP_T7_T8_P12ihipStream_tbEUllE_jLj1EEEvSL_SM_SM_, .Lfunc_end26-_ZN6thrust23THRUST_200600_302600_NS11hip_rocprim14__parallel_for6kernelILj256EZNS1_16__set_operations9doit_stepILb0ENS0_6detail15normal_iteratorINS0_10device_ptrIKiEEEESB_PiSC_lNS7_INS8_IiEEEESC_NS0_4lessIiEENS4_31serial_set_symmetric_differenceEEE10hipError_tPvRmT0_T1_T2_T3_T4_SP_T5_T6_PSP_T7_T8_P12ihipStream_tbEUllE_jLj1EEEvSL_SM_SM_
                                        ; -- End function
	.section	.AMDGPU.csdata,"",@progbits
; Kernel info:
; codeLenInByte = 3988
; NumSgprs: 26
; NumVgprs: 25
; NumAgprs: 0
; TotalNumVgprs: 25
; ScratchSize: 0
; MemoryBound: 0
; FloatMode: 240
; IeeeMode: 1
; LDSByteSize: 0 bytes/workgroup (compile time only)
; SGPRBlocks: 3
; VGPRBlocks: 3
; NumSGPRsForWavesPerEU: 26
; NumVGPRsForWavesPerEU: 25
; AccumOffset: 28
; Occupancy: 8
; WaveLimiterHint : 0
; COMPUTE_PGM_RSRC2:SCRATCH_EN: 0
; COMPUTE_PGM_RSRC2:USER_SGPR: 6
; COMPUTE_PGM_RSRC2:TRAP_HANDLER: 0
; COMPUTE_PGM_RSRC2:TGID_X_EN: 1
; COMPUTE_PGM_RSRC2:TGID_Y_EN: 0
; COMPUTE_PGM_RSRC2:TGID_Z_EN: 0
; COMPUTE_PGM_RSRC2:TIDIG_COMP_CNT: 0
; COMPUTE_PGM_RSRC3_GFX90A:ACCUM_OFFSET: 6
; COMPUTE_PGM_RSRC3_GFX90A:TG_SPLIT: 0
	.section	.text._ZN6thrust23THRUST_200600_302600_NS11hip_rocprim16__set_operations22lookback_set_op_kernelIN7rocprim17ROCPRIM_400000_NS13kernel_configILj256ELj16ELj4294967295EEELb0ENS0_6detail15normal_iteratorINS0_10device_ptrIKiEEEESD_PiSE_lNS9_INSA_IiEEEESE_NS0_4lessIiEENS2_31serial_set_symmetric_differenceENS5_6detail19lookback_scan_stateIlLb0ELb1EEEEEvT1_T2_T3_T4_T6_T7_T8_T9_PNS0_4pairIT5_SW_EEPSW_T10_NSK_16ordered_block_idIjEE,"axG",@progbits,_ZN6thrust23THRUST_200600_302600_NS11hip_rocprim16__set_operations22lookback_set_op_kernelIN7rocprim17ROCPRIM_400000_NS13kernel_configILj256ELj16ELj4294967295EEELb0ENS0_6detail15normal_iteratorINS0_10device_ptrIKiEEEESD_PiSE_lNS9_INSA_IiEEEESE_NS0_4lessIiEENS2_31serial_set_symmetric_differenceENS5_6detail19lookback_scan_stateIlLb0ELb1EEEEEvT1_T2_T3_T4_T6_T7_T8_T9_PNS0_4pairIT5_SW_EEPSW_T10_NSK_16ordered_block_idIjEE,comdat
	.protected	_ZN6thrust23THRUST_200600_302600_NS11hip_rocprim16__set_operations22lookback_set_op_kernelIN7rocprim17ROCPRIM_400000_NS13kernel_configILj256ELj16ELj4294967295EEELb0ENS0_6detail15normal_iteratorINS0_10device_ptrIKiEEEESD_PiSE_lNS9_INSA_IiEEEESE_NS0_4lessIiEENS2_31serial_set_symmetric_differenceENS5_6detail19lookback_scan_stateIlLb0ELb1EEEEEvT1_T2_T3_T4_T6_T7_T8_T9_PNS0_4pairIT5_SW_EEPSW_T10_NSK_16ordered_block_idIjEE ; -- Begin function _ZN6thrust23THRUST_200600_302600_NS11hip_rocprim16__set_operations22lookback_set_op_kernelIN7rocprim17ROCPRIM_400000_NS13kernel_configILj256ELj16ELj4294967295EEELb0ENS0_6detail15normal_iteratorINS0_10device_ptrIKiEEEESD_PiSE_lNS9_INSA_IiEEEESE_NS0_4lessIiEENS2_31serial_set_symmetric_differenceENS5_6detail19lookback_scan_stateIlLb0ELb1EEEEEvT1_T2_T3_T4_T6_T7_T8_T9_PNS0_4pairIT5_SW_EEPSW_T10_NSK_16ordered_block_idIjEE
	.globl	_ZN6thrust23THRUST_200600_302600_NS11hip_rocprim16__set_operations22lookback_set_op_kernelIN7rocprim17ROCPRIM_400000_NS13kernel_configILj256ELj16ELj4294967295EEELb0ENS0_6detail15normal_iteratorINS0_10device_ptrIKiEEEESD_PiSE_lNS9_INSA_IiEEEESE_NS0_4lessIiEENS2_31serial_set_symmetric_differenceENS5_6detail19lookback_scan_stateIlLb0ELb1EEEEEvT1_T2_T3_T4_T6_T7_T8_T9_PNS0_4pairIT5_SW_EEPSW_T10_NSK_16ordered_block_idIjEE
	.p2align	8
	.type	_ZN6thrust23THRUST_200600_302600_NS11hip_rocprim16__set_operations22lookback_set_op_kernelIN7rocprim17ROCPRIM_400000_NS13kernel_configILj256ELj16ELj4294967295EEELb0ENS0_6detail15normal_iteratorINS0_10device_ptrIKiEEEESD_PiSE_lNS9_INSA_IiEEEESE_NS0_4lessIiEENS2_31serial_set_symmetric_differenceENS5_6detail19lookback_scan_stateIlLb0ELb1EEEEEvT1_T2_T3_T4_T6_T7_T8_T9_PNS0_4pairIT5_SW_EEPSW_T10_NSK_16ordered_block_idIjEE,@function
_ZN6thrust23THRUST_200600_302600_NS11hip_rocprim16__set_operations22lookback_set_op_kernelIN7rocprim17ROCPRIM_400000_NS13kernel_configILj256ELj16ELj4294967295EEELb0ENS0_6detail15normal_iteratorINS0_10device_ptrIKiEEEESD_PiSE_lNS9_INSA_IiEEEESE_NS0_4lessIiEENS2_31serial_set_symmetric_differenceENS5_6detail19lookback_scan_stateIlLb0ELb1EEEEEvT1_T2_T3_T4_T6_T7_T8_T9_PNS0_4pairIT5_SW_EEPSW_T10_NSK_16ordered_block_idIjEE: ; @_ZN6thrust23THRUST_200600_302600_NS11hip_rocprim16__set_operations22lookback_set_op_kernelIN7rocprim17ROCPRIM_400000_NS13kernel_configILj256ELj16ELj4294967295EEELb0ENS0_6detail15normal_iteratorINS0_10device_ptrIKiEEEESD_PiSE_lNS9_INSA_IiEEEESE_NS0_4lessIiEENS2_31serial_set_symmetric_differenceENS5_6detail19lookback_scan_stateIlLb0ELb1EEEEEvT1_T2_T3_T4_T6_T7_T8_T9_PNS0_4pairIT5_SW_EEPSW_T10_NSK_16ordered_block_idIjEE
; %bb.0:
	s_load_dword s0, s[4:5], 0x64
	s_load_dword s8, s[4:5], 0x58
	s_load_dwordx8 s[68:75], s[4:5], 0x38
	v_bfe_u32 v1, v0, 10, 10
	v_bfe_u32 v2, v0, 20, 10
	s_waitcnt lgkmcnt(0)
	s_lshr_b32 s1, s0, 16
	s_and_b32 s0, s0, 0xffff
	v_mad_u32_u24 v1, v2, s1, v1
	v_and_b32_e32 v16, 0x3ff, v0
	v_mul_lo_u32 v1, v1, s0
	v_sub_u32_e32 v0, 0, v16
	v_cmp_eq_u32_e32 vcc, v1, v0
	s_and_saveexec_b64 s[0:1], vcc
	s_cbranch_execz .LBB27_4
; %bb.1:
	s_mov_b64 s[6:7], exec
	v_mbcnt_lo_u32_b32 v0, s6, 0
	v_mbcnt_hi_u32_b32 v0, s7, v0
	v_cmp_eq_u32_e32 vcc, 0, v0
                                        ; implicit-def: $vgpr1
	s_and_saveexec_b64 s[2:3], vcc
	s_cbranch_execz .LBB27_3
; %bb.2:
	s_bcnt1_i32_b64 s6, s[6:7]
	v_mov_b32_e32 v1, 0
	v_mov_b32_e32 v2, s6
	global_atomic_add v1, v1, v2, s[74:75] glc
.LBB27_3:
	s_or_b64 exec, exec, s[2:3]
	s_waitcnt vmcnt(0)
	v_readfirstlane_b32 s2, v1
	v_add_u32_e32 v0, s2, v0
	v_mov_b32_e32 v1, 0
	ds_write_b32 v1, v0 offset:36864
.LBB27_4:
	s_or_b64 exec, exec, s[0:1]
	v_mov_b32_e32 v8, 0
	s_waitcnt lgkmcnt(0)
	s_barrier
	ds_read_b32 v9, v8 offset:36864
	s_add_i32 s8, s8, -1
	s_waitcnt lgkmcnt(0)
	v_readfirstlane_b32 s74, v9
	s_ashr_i32 s75, s74, 31
	s_lshl_b64 s[0:1], s[74:75], 4
	s_add_u32 s0, s68, s0
	s_addc_u32 s1, s69, s1
	global_load_dwordx4 v[0:3], v8, s[0:1] offset:16
	global_load_dwordx4 v[4:7], v8, s[0:1]
	s_load_dwordx4 s[0:3], s[4:5], 0x0
	s_load_dwordx2 s[68:69], s[4:5], 0x20
	v_cmp_le_i32_e32 vcc, s8, v9
	s_and_b64 vcc, exec, vcc
	s_waitcnt lgkmcnt(0)
	v_mov_b32_e32 v8, s1
	v_mov_b32_e32 v10, s3
	s_waitcnt vmcnt(0)
	v_sub_u32_e32 v20, v0, v4
	v_lshlrev_b64 v[0:1], 2, v[4:5]
	v_add_co_u32_e64 v24, s[0:1], s0, v0
	v_sub_u32_e32 v21, v2, v6
	v_lshlrev_b64 v[2:3], 2, v[6:7]
	v_addc_co_u32_e64 v25, s[0:1], v8, v1, s[0:1]
	v_add_co_u32_e64 v22, s[0:1], s2, v2
	v_addc_co_u32_e64 v23, s[0:1], v10, v3, s[0:1]
	s_mov_b64 s[0:1], -1
	s_cbranch_vccz .LBB27_208
; %bb.5:
	v_add_u32_e32 v17, v21, v20
	v_cmp_lt_i32_e32 vcc, v16, v17
                                        ; implicit-def: $vgpr0_vgpr1_vgpr2_vgpr3_vgpr4_vgpr5_vgpr6_vgpr7_vgpr8_vgpr9_vgpr10_vgpr11_vgpr12_vgpr13_vgpr14_vgpr15
	s_and_saveexec_b64 s[0:1], vcc
	s_cbranch_execz .LBB27_7
; %bb.6:
	v_lshlrev_b32_e32 v0, 2, v16
	v_add_co_u32_e32 v2, vcc, v24, v0
	v_sub_u32_e32 v0, v16, v20
	v_ashrrev_i32_e32 v1, 31, v0
	v_addc_co_u32_e32 v3, vcc, 0, v25, vcc
	v_lshlrev_b64 v[0:1], 2, v[0:1]
	v_add_co_u32_e32 v0, vcc, v22, v0
	v_addc_co_u32_e32 v1, vcc, v23, v1, vcc
	v_cmp_lt_i32_e32 vcc, v16, v20
	v_cndmask_b32_e32 v1, v1, v3, vcc
	v_cndmask_b32_e32 v0, v0, v2, vcc
	global_load_dword v0, v[0:1], off
.LBB27_7:
	s_or_b64 exec, exec, s[0:1]
	v_add_u32_e32 v18, 0x100, v16
	v_cmp_lt_i32_e32 vcc, v18, v17
	s_and_saveexec_b64 s[0:1], vcc
	s_cbranch_execz .LBB27_9
; %bb.8:
	v_lshlrev_b32_e32 v1, 2, v16
	v_add_co_u32_e32 v1, vcc, v24, v1
	v_addc_co_u32_e32 v19, vcc, 0, v25, vcc
	v_ashrrev_i32_e32 v27, 31, v20
	v_sub_co_u32_e32 v26, vcc, v16, v20
	v_subb_co_u32_e32 v27, vcc, 0, v27, vcc
	v_lshlrev_b64 v[26:27], 2, v[26:27]
	v_add_co_u32_e32 v26, vcc, v22, v26
	v_addc_co_u32_e32 v27, vcc, v23, v27, vcc
	v_cmp_lt_i32_e32 vcc, v18, v20
	v_cndmask_b32_e32 v19, v27, v19, vcc
	v_cndmask_b32_e32 v18, v26, v1, vcc
	global_load_dword v1, v[18:19], off offset:1024
.LBB27_9:
	s_or_b64 exec, exec, s[0:1]
	v_add_u32_e32 v18, 0x200, v16
	v_cmp_lt_i32_e32 vcc, v18, v17
	s_and_saveexec_b64 s[0:1], vcc
	s_cbranch_execz .LBB27_11
; %bb.10:
	v_lshlrev_b32_e32 v2, 2, v16
	v_add_co_u32_e32 v2, vcc, v24, v2
	v_addc_co_u32_e32 v19, vcc, 0, v25, vcc
	v_ashrrev_i32_e32 v27, 31, v20
	v_sub_co_u32_e32 v26, vcc, v16, v20
	v_subb_co_u32_e32 v27, vcc, 0, v27, vcc
	v_lshlrev_b64 v[26:27], 2, v[26:27]
	v_add_co_u32_e32 v26, vcc, v22, v26
	v_addc_co_u32_e32 v27, vcc, v23, v27, vcc
	v_cmp_lt_i32_e32 vcc, v18, v20
	v_cndmask_b32_e32 v19, v27, v19, vcc
	v_cndmask_b32_e32 v18, v26, v2, vcc
	global_load_dword v2, v[18:19], off offset:2048
.LBB27_11:
	;; [unrolled: 20-line block ×3, first 2 shown]
	s_or_b64 exec, exec, s[0:1]
	v_or_b32_e32 v18, 0x400, v16
	v_cmp_lt_i32_e32 vcc, v18, v17
	s_and_saveexec_b64 s[0:1], vcc
	s_cbranch_execz .LBB27_15
; %bb.14:
	v_lshlrev_b32_e32 v4, 2, v18
	v_sub_u32_e32 v26, v18, v20
	v_add_co_u32_e32 v4, vcc, v24, v4
	v_ashrrev_i32_e32 v27, 31, v26
	v_addc_co_u32_e32 v19, vcc, 0, v25, vcc
	v_lshlrev_b64 v[26:27], 2, v[26:27]
	v_add_co_u32_e32 v26, vcc, v22, v26
	v_addc_co_u32_e32 v27, vcc, v23, v27, vcc
	v_cmp_lt_i32_e32 vcc, v18, v20
	v_cndmask_b32_e32 v19, v27, v19, vcc
	v_cndmask_b32_e32 v18, v26, v4, vcc
	global_load_dword v4, v[18:19], off
.LBB27_15:
	s_or_b64 exec, exec, s[0:1]
	v_add_u32_e32 v18, 0x500, v16
	v_cmp_lt_i32_e32 vcc, v18, v17
	s_and_saveexec_b64 s[0:1], vcc
	s_cbranch_execz .LBB27_17
; %bb.16:
	v_lshlrev_b32_e32 v5, 2, v18
	v_sub_u32_e32 v26, v18, v20
	v_add_co_u32_e32 v5, vcc, v24, v5
	v_ashrrev_i32_e32 v27, 31, v26
	v_addc_co_u32_e32 v19, vcc, 0, v25, vcc
	v_lshlrev_b64 v[26:27], 2, v[26:27]
	v_add_co_u32_e32 v26, vcc, v22, v26
	v_addc_co_u32_e32 v27, vcc, v23, v27, vcc
	v_cmp_lt_i32_e32 vcc, v18, v20
	v_cndmask_b32_e32 v19, v27, v19, vcc
	v_cndmask_b32_e32 v18, v26, v5, vcc
	global_load_dword v5, v[18:19], off
.LBB27_17:
	s_or_b64 exec, exec, s[0:1]
	v_add_u32_e32 v18, 0x600, v16
	;; [unrolled: 19-line block ×3, first 2 shown]
	v_cmp_lt_i32_e32 vcc, v18, v17
	s_and_saveexec_b64 s[0:1], vcc
	s_cbranch_execz .LBB27_21
; %bb.20:
	v_lshlrev_b32_e32 v7, 2, v18
	v_sub_u32_e32 v26, v18, v20
	v_add_co_u32_e32 v7, vcc, v24, v7
	v_ashrrev_i32_e32 v27, 31, v26
	v_addc_co_u32_e32 v19, vcc, 0, v25, vcc
	v_lshlrev_b64 v[26:27], 2, v[26:27]
	v_add_co_u32_e32 v26, vcc, v22, v26
	v_addc_co_u32_e32 v27, vcc, v23, v27, vcc
	v_cmp_lt_i32_e32 vcc, v18, v20
	v_cndmask_b32_e32 v19, v27, v19, vcc
	v_cndmask_b32_e32 v18, v26, v7, vcc
	global_load_dword v7, v[18:19], off
.LBB27_21:
	s_or_b64 exec, exec, s[0:1]
	v_or_b32_e32 v18, 0x800, v16
	v_cmp_lt_i32_e32 vcc, v18, v17
	s_and_saveexec_b64 s[0:1], vcc
	s_cbranch_execz .LBB27_23
; %bb.22:
	v_lshlrev_b32_e32 v8, 2, v18
	v_sub_u32_e32 v26, v18, v20
	v_add_co_u32_e32 v8, vcc, v24, v8
	v_ashrrev_i32_e32 v27, 31, v26
	v_addc_co_u32_e32 v19, vcc, 0, v25, vcc
	v_lshlrev_b64 v[26:27], 2, v[26:27]
	v_add_co_u32_e32 v26, vcc, v22, v26
	v_addc_co_u32_e32 v27, vcc, v23, v27, vcc
	v_cmp_lt_i32_e32 vcc, v18, v20
	v_cndmask_b32_e32 v19, v27, v19, vcc
	v_cndmask_b32_e32 v18, v26, v8, vcc
	global_load_dword v8, v[18:19], off
.LBB27_23:
	s_or_b64 exec, exec, s[0:1]
	v_add_u32_e32 v18, 0x900, v16
	v_cmp_lt_i32_e32 vcc, v18, v17
	s_and_saveexec_b64 s[0:1], vcc
	s_cbranch_execz .LBB27_25
; %bb.24:
	v_lshlrev_b32_e32 v9, 2, v18
	v_sub_u32_e32 v26, v18, v20
	v_add_co_u32_e32 v9, vcc, v24, v9
	v_ashrrev_i32_e32 v27, 31, v26
	v_addc_co_u32_e32 v19, vcc, 0, v25, vcc
	v_lshlrev_b64 v[26:27], 2, v[26:27]
	v_add_co_u32_e32 v26, vcc, v22, v26
	v_addc_co_u32_e32 v27, vcc, v23, v27, vcc
	v_cmp_lt_i32_e32 vcc, v18, v20
	v_cndmask_b32_e32 v19, v27, v19, vcc
	v_cndmask_b32_e32 v18, v26, v9, vcc
	global_load_dword v9, v[18:19], off
.LBB27_25:
	s_or_b64 exec, exec, s[0:1]
	v_add_u32_e32 v18, 0xa00, v16
	v_cmp_lt_i32_e32 vcc, v18, v17
	s_and_saveexec_b64 s[0:1], vcc
	s_cbranch_execz .LBB27_27
; %bb.26:
	v_lshlrev_b32_e32 v10, 2, v18
	v_sub_u32_e32 v26, v18, v20
	v_add_co_u32_e32 v10, vcc, v24, v10
	v_ashrrev_i32_e32 v27, 31, v26
	v_addc_co_u32_e32 v19, vcc, 0, v25, vcc
	v_lshlrev_b64 v[26:27], 2, v[26:27]
	v_add_co_u32_e32 v26, vcc, v22, v26
	v_addc_co_u32_e32 v27, vcc, v23, v27, vcc
	v_cmp_lt_i32_e32 vcc, v18, v20
	v_cndmask_b32_e32 v19, v27, v19, vcc
	v_cndmask_b32_e32 v18, v26, v10, vcc
	global_load_dword v10, v[18:19], off
.LBB27_27:
	s_or_b64 exec, exec, s[0:1]
	v_add_u32_e32 v18, 0xb00, v16
	v_cmp_lt_i32_e32 vcc, v18, v17
	s_and_saveexec_b64 s[0:1], vcc
	s_cbranch_execz .LBB27_29
; %bb.28:
	v_lshlrev_b32_e32 v11, 2, v18
	v_sub_u32_e32 v26, v18, v20
	v_add_co_u32_e32 v11, vcc, v24, v11
	v_ashrrev_i32_e32 v27, 31, v26
	v_addc_co_u32_e32 v19, vcc, 0, v25, vcc
	v_lshlrev_b64 v[26:27], 2, v[26:27]
	v_add_co_u32_e32 v26, vcc, v22, v26
	v_addc_co_u32_e32 v27, vcc, v23, v27, vcc
	v_cmp_lt_i32_e32 vcc, v18, v20
	v_cndmask_b32_e32 v19, v27, v19, vcc
	v_cndmask_b32_e32 v18, v26, v11, vcc
	global_load_dword v11, v[18:19], off
.LBB27_29:
	s_or_b64 exec, exec, s[0:1]
	v_or_b32_e32 v18, 0xc00, v16
	v_cmp_lt_i32_e32 vcc, v18, v17
	s_and_saveexec_b64 s[0:1], vcc
	s_cbranch_execz .LBB27_31
; %bb.30:
	v_lshlrev_b32_e32 v12, 2, v18
	v_sub_u32_e32 v26, v18, v20
	v_add_co_u32_e32 v12, vcc, v24, v12
	v_ashrrev_i32_e32 v27, 31, v26
	v_addc_co_u32_e32 v19, vcc, 0, v25, vcc
	v_lshlrev_b64 v[26:27], 2, v[26:27]
	v_add_co_u32_e32 v26, vcc, v22, v26
	v_addc_co_u32_e32 v27, vcc, v23, v27, vcc
	v_cmp_lt_i32_e32 vcc, v18, v20
	v_cndmask_b32_e32 v19, v27, v19, vcc
	v_cndmask_b32_e32 v18, v26, v12, vcc
	global_load_dword v12, v[18:19], off
.LBB27_31:
	s_or_b64 exec, exec, s[0:1]
	v_add_u32_e32 v18, 0xd00, v16
	v_cmp_lt_i32_e32 vcc, v18, v17
	s_and_saveexec_b64 s[0:1], vcc
	s_cbranch_execz .LBB27_33
; %bb.32:
	v_lshlrev_b32_e32 v13, 2, v18
	v_sub_u32_e32 v26, v18, v20
	v_add_co_u32_e32 v13, vcc, v24, v13
	v_ashrrev_i32_e32 v27, 31, v26
	v_addc_co_u32_e32 v19, vcc, 0, v25, vcc
	v_lshlrev_b64 v[26:27], 2, v[26:27]
	v_add_co_u32_e32 v26, vcc, v22, v26
	v_addc_co_u32_e32 v27, vcc, v23, v27, vcc
	v_cmp_lt_i32_e32 vcc, v18, v20
	v_cndmask_b32_e32 v19, v27, v19, vcc
	v_cndmask_b32_e32 v18, v26, v13, vcc
	global_load_dword v13, v[18:19], off
.LBB27_33:
	s_or_b64 exec, exec, s[0:1]
	v_add_u32_e32 v18, 0xe00, v16
	;; [unrolled: 19-line block ×3, first 2 shown]
	v_cmp_lt_i32_e32 vcc, v18, v17
	s_and_saveexec_b64 s[0:1], vcc
	s_cbranch_execz .LBB27_37
; %bb.36:
	v_lshlrev_b32_e32 v15, 2, v18
	v_sub_u32_e32 v26, v18, v20
	v_add_co_u32_e32 v15, vcc, v24, v15
	v_ashrrev_i32_e32 v27, 31, v26
	v_addc_co_u32_e32 v19, vcc, 0, v25, vcc
	v_lshlrev_b64 v[26:27], 2, v[26:27]
	v_add_co_u32_e32 v26, vcc, v22, v26
	v_addc_co_u32_e32 v27, vcc, v23, v27, vcc
	v_cmp_lt_i32_e32 vcc, v18, v20
	v_cndmask_b32_e32 v19, v27, v19, vcc
	v_cndmask_b32_e32 v18, v26, v15, vcc
	global_load_dword v15, v[18:19], off
.LBB27_37:
	s_or_b64 exec, exec, s[0:1]
	v_lshlrev_b32_e32 v18, 2, v16
	s_waitcnt vmcnt(0)
	ds_write2st64_b32 v18, v0, v1 offset0:76 offset1:80
	ds_write2st64_b32 v18, v2, v3 offset0:84 offset1:88
	;; [unrolled: 1-line block ×8, first 2 shown]
	v_lshlrev_b32_e32 v0, 4, v16
	v_min_i32_e32 v1, v17, v0
	v_lshlrev_b32_e32 v0, 2, v20
	v_add_u32_e32 v5, 0x4800, v0
	v_sub_u32_e32 v0, v1, v21
	v_max_i32_e32 v0, 0, v0
	v_min_i32_e32 v2, v20, v1
	v_cmp_lt_i32_e32 vcc, v0, v2
	s_waitcnt lgkmcnt(0)
	s_barrier
	s_and_saveexec_b64 s[0:1], vcc
	s_cbranch_execz .LBB27_41
; %bb.38:
	v_lshl_add_u32 v3, v1, 2, v5
	v_add_u32_e32 v3, 0x400, v3
	s_mov_b64 s[2:3], 0
.LBB27_39:                              ; =>This Inner Loop Header: Depth=1
	v_add_u32_e32 v4, v2, v0
	v_ashrrev_i32_e32 v4, 1, v4
	v_not_b32_e32 v7, v4
	v_lshlrev_b32_e32 v6, 2, v4
	v_lshl_add_u32 v7, v7, 2, v3
	ds_read_b32 v6, v6 offset:19456
	ds_read_b32 v7, v7
	v_add_u32_e32 v8, 1, v4
	s_waitcnt lgkmcnt(0)
	v_cmp_lt_i32_e32 vcc, v7, v6
	v_cndmask_b32_e32 v2, v2, v4, vcc
	v_cndmask_b32_e32 v0, v8, v0, vcc
	v_cmp_ge_i32_e32 vcc, v0, v2
	s_or_b64 s[2:3], vcc, s[2:3]
	s_andn2_b64 exec, exec, s[2:3]
	s_cbranch_execnz .LBB27_39
; %bb.40:
	s_or_b64 exec, exec, s[2:3]
.LBB27_41:
	s_or_b64 exec, exec, s[0:1]
	v_sub_u32_e32 v6, v1, v0
	v_add_u32_e32 v3, 0x4800, v18
	v_add_u32_e32 v26, 0x4c00, v18
	v_cmp_lt_i32_e32 vcc, v6, v21
	v_mov_b32_e32 v4, 0
	s_and_saveexec_b64 s[2:3], vcc
	s_cbranch_execz .LBB27_71
; %bb.42:
	v_lshl_add_u32 v7, v6, 2, v5
	ds_read_b32 v4, v7 offset:1024
	v_cmp_lt_i32_e32 vcc, 0, v0
	v_mov_b32_e32 v2, 0
	v_mov_b32_e32 v8, v0
	s_and_saveexec_b64 s[0:1], vcc
	s_cbranch_execnz .LBB27_47
; %bb.43:
	s_or_b64 exec, exec, s[0:1]
	v_cmp_lt_i32_e32 vcc, v2, v8
	s_and_saveexec_b64 s[0:1], vcc
	s_cbranch_execnz .LBB27_48
.LBB27_44:
	s_or_b64 exec, exec, s[0:1]
	v_cmp_lt_i32_e32 vcc, v2, v8
	s_and_saveexec_b64 s[0:1], vcc
	s_cbranch_execnz .LBB27_49
.LBB27_45:
	s_or_b64 exec, exec, s[0:1]
	v_cmp_lt_i32_e32 vcc, v2, v8
	s_and_saveexec_b64 s[0:1], vcc
	s_cbranch_execnz .LBB27_50
.LBB27_46:
	s_or_b64 exec, exec, s[0:1]
	v_cmp_lt_i32_e32 vcc, v2, v8
	s_and_saveexec_b64 s[0:1], vcc
	s_cbranch_execnz .LBB27_51
	s_branch .LBB27_54
.LBB27_47:
	s_movk_i32 s4, 0x1ff
	v_mul_lo_u32 v2, v0, s4
	v_ashrrev_i32_e32 v8, 9, v2
	v_lshlrev_b32_e32 v2, 2, v8
	ds_read_b32 v2, v2 offset:19456
	v_add_u32_e32 v9, 1, v8
	s_waitcnt lgkmcnt(0)
	v_cmp_lt_i32_e32 vcc, v2, v4
	v_cndmask_b32_e32 v2, 0, v9, vcc
	v_cndmask_b32_e32 v8, v8, v0, vcc
	s_or_b64 exec, exec, s[0:1]
	v_cmp_lt_i32_e32 vcc, v2, v8
	s_and_saveexec_b64 s[0:1], vcc
	s_cbranch_execz .LBB27_44
.LBB27_48:
	v_sub_u32_e32 v9, v2, v8
	v_lshl_add_u32 v9, v8, 7, v9
	v_ashrrev_i32_e32 v9, 7, v9
	v_lshlrev_b32_e32 v10, 2, v9
	ds_read_b32 v10, v10 offset:19456
	v_add_u32_e32 v11, 1, v9
	s_waitcnt lgkmcnt(0)
	v_cmp_lt_i32_e32 vcc, v10, v4
	v_cndmask_b32_e32 v2, v2, v11, vcc
	v_cndmask_b32_e32 v8, v9, v8, vcc
	s_or_b64 exec, exec, s[0:1]
	v_cmp_lt_i32_e32 vcc, v2, v8
	s_and_saveexec_b64 s[0:1], vcc
	s_cbranch_execz .LBB27_45
.LBB27_49:
	v_sub_u32_e32 v9, v2, v8
	v_lshl_add_u32 v9, v8, 5, v9
	v_ashrrev_i32_e32 v9, 5, v9
	v_lshlrev_b32_e32 v10, 2, v9
	ds_read_b32 v10, v10 offset:19456
	v_add_u32_e32 v11, 1, v9
	s_waitcnt lgkmcnt(0)
	v_cmp_lt_i32_e32 vcc, v10, v4
	v_cndmask_b32_e32 v2, v2, v11, vcc
	v_cndmask_b32_e32 v8, v9, v8, vcc
	s_or_b64 exec, exec, s[0:1]
	v_cmp_lt_i32_e32 vcc, v2, v8
	s_and_saveexec_b64 s[0:1], vcc
	s_cbranch_execz .LBB27_46
.LBB27_50:
	v_sub_u32_e32 v9, v2, v8
	v_lshl_add_u32 v9, v8, 4, v9
	v_ashrrev_i32_e32 v9, 4, v9
	v_lshlrev_b32_e32 v10, 2, v9
	ds_read_b32 v10, v10 offset:19456
	v_add_u32_e32 v11, 1, v9
	s_waitcnt lgkmcnt(0)
	v_cmp_lt_i32_e32 vcc, v10, v4
	v_cndmask_b32_e32 v2, v2, v11, vcc
	v_cndmask_b32_e32 v8, v9, v8, vcc
	s_or_b64 exec, exec, s[0:1]
	v_cmp_lt_i32_e32 vcc, v2, v8
	s_and_saveexec_b64 s[0:1], vcc
	s_cbranch_execz .LBB27_54
.LBB27_51:
	s_mov_b64 s[4:5], 0
.LBB27_52:                              ; =>This Inner Loop Header: Depth=1
	v_sub_u32_e32 v9, v2, v8
	v_lshl_add_u32 v9, v8, 1, v9
	v_ashrrev_i32_e32 v9, 1, v9
	v_lshlrev_b32_e32 v10, 2, v9
	ds_read_b32 v10, v10 offset:19456
	v_add_u32_e32 v11, 1, v9
	s_waitcnt lgkmcnt(0)
	v_cmp_lt_i32_e32 vcc, v10, v4
	v_cndmask_b32_e32 v2, v2, v11, vcc
	v_cndmask_b32_e32 v8, v9, v8, vcc
	v_cmp_ge_i32_e32 vcc, v2, v8
	s_or_b64 s[4:5], vcc, s[4:5]
	s_andn2_b64 exec, exec, s[4:5]
	s_cbranch_execnz .LBB27_52
; %bb.53:
	s_or_b64 exec, exec, s[4:5]
.LBB27_54:
	s_or_b64 exec, exec, s[0:1]
	v_add_u32_e32 v7, 0x400, v7
	v_cmp_lt_i32_e32 vcc, 0, v6
	v_mov_b32_e32 v8, 0
	v_mov_b32_e32 v9, v6
	s_and_saveexec_b64 s[0:1], vcc
	s_cbranch_execnz .LBB27_59
; %bb.55:
	s_or_b64 exec, exec, s[0:1]
	v_cmp_lt_i32_e32 vcc, v8, v9
	s_and_saveexec_b64 s[0:1], vcc
	s_cbranch_execnz .LBB27_60
.LBB27_56:
	s_or_b64 exec, exec, s[0:1]
	v_cmp_lt_i32_e32 vcc, v8, v9
	s_and_saveexec_b64 s[0:1], vcc
	s_cbranch_execnz .LBB27_61
.LBB27_57:
	s_or_b64 exec, exec, s[0:1]
	v_cmp_lt_i32_e32 vcc, v8, v9
	s_and_saveexec_b64 s[0:1], vcc
	s_cbranch_execnz .LBB27_62
.LBB27_58:
	s_or_b64 exec, exec, s[0:1]
	v_cmp_lt_i32_e32 vcc, v8, v9
	s_and_saveexec_b64 s[0:1], vcc
	s_cbranch_execnz .LBB27_63
	s_branch .LBB27_66
.LBB27_59:
	s_movk_i32 s4, 0x1ff
	v_mul_lo_u32 v8, v6, s4
	v_ashrrev_i32_e32 v9, 9, v8
	v_lshl_add_u32 v8, v9, 2, v5
	ds_read_b32 v8, v8 offset:1024
	v_add_u32_e32 v10, 1, v9
	s_waitcnt lgkmcnt(0)
	v_cmp_lt_i32_e32 vcc, v8, v4
	v_cndmask_b32_e32 v8, 0, v10, vcc
	v_cndmask_b32_e32 v9, v9, v6, vcc
	s_or_b64 exec, exec, s[0:1]
	v_cmp_lt_i32_e32 vcc, v8, v9
	s_and_saveexec_b64 s[0:1], vcc
	s_cbranch_execz .LBB27_56
.LBB27_60:
	v_sub_u32_e32 v10, v8, v9
	v_lshl_add_u32 v10, v9, 7, v10
	v_ashrrev_i32_e32 v10, 7, v10
	v_lshl_add_u32 v11, v10, 2, v5
	ds_read_b32 v11, v11 offset:1024
	v_add_u32_e32 v12, 1, v10
	s_waitcnt lgkmcnt(0)
	v_cmp_lt_i32_e32 vcc, v11, v4
	v_cndmask_b32_e32 v8, v8, v12, vcc
	v_cndmask_b32_e32 v9, v10, v9, vcc
	s_or_b64 exec, exec, s[0:1]
	v_cmp_lt_i32_e32 vcc, v8, v9
	s_and_saveexec_b64 s[0:1], vcc
	s_cbranch_execz .LBB27_57
.LBB27_61:
	v_sub_u32_e32 v10, v8, v9
	v_lshl_add_u32 v10, v9, 5, v10
	v_ashrrev_i32_e32 v10, 5, v10
	v_lshl_add_u32 v11, v10, 2, v5
	ds_read_b32 v11, v11 offset:1024
	v_add_u32_e32 v12, 1, v10
	s_waitcnt lgkmcnt(0)
	v_cmp_lt_i32_e32 vcc, v11, v4
	v_cndmask_b32_e32 v8, v8, v12, vcc
	v_cndmask_b32_e32 v9, v10, v9, vcc
	s_or_b64 exec, exec, s[0:1]
	v_cmp_lt_i32_e32 vcc, v8, v9
	s_and_saveexec_b64 s[0:1], vcc
	s_cbranch_execz .LBB27_58
.LBB27_62:
	v_sub_u32_e32 v10, v8, v9
	v_lshl_add_u32 v10, v9, 4, v10
	v_ashrrev_i32_e32 v10, 4, v10
	v_lshl_add_u32 v11, v10, 2, v5
	ds_read_b32 v11, v11 offset:1024
	v_add_u32_e32 v12, 1, v10
	s_waitcnt lgkmcnt(0)
	v_cmp_lt_i32_e32 vcc, v11, v4
	v_cndmask_b32_e32 v8, v8, v12, vcc
	v_cndmask_b32_e32 v9, v10, v9, vcc
	s_or_b64 exec, exec, s[0:1]
	v_cmp_lt_i32_e32 vcc, v8, v9
	s_and_saveexec_b64 s[0:1], vcc
	s_cbranch_execz .LBB27_66
.LBB27_63:
	v_add_u32_e32 v5, 0x400, v5
	s_mov_b64 s[4:5], 0
.LBB27_64:                              ; =>This Inner Loop Header: Depth=1
	v_sub_u32_e32 v10, v8, v9
	v_lshl_add_u32 v10, v9, 1, v10
	v_ashrrev_i32_e32 v10, 1, v10
	v_lshl_add_u32 v11, v10, 2, v5
	ds_read_b32 v11, v11
	v_add_u32_e32 v12, 1, v10
	s_waitcnt lgkmcnt(0)
	v_cmp_lt_i32_e32 vcc, v11, v4
	v_cndmask_b32_e32 v8, v8, v12, vcc
	v_cndmask_b32_e32 v9, v10, v9, vcc
	v_cmp_ge_i32_e32 vcc, v8, v9
	s_or_b64 s[4:5], vcc, s[4:5]
	s_andn2_b64 exec, exec, s[4:5]
	s_cbranch_execnz .LBB27_64
; %bb.65:
	s_or_b64 exec, exec, s[4:5]
.LBB27_66:
	s_or_b64 exec, exec, s[0:1]
	v_sub_u32_e32 v0, v0, v2
	v_sub_u32_e32 v9, v6, v8
	v_add_u32_e32 v5, v9, v0
	v_ashrrev_i32_e32 v0, 1, v5
	v_max_i32_e32 v0, v0, v9
	v_add3_u32 v8, v8, v0, 1
	v_min_i32_e32 v8, v8, v21
	v_sub_u32_e32 v8, v8, v6
	v_cmp_lt_i32_e32 vcc, 0, v8
	v_mov_b32_e32 v6, 0
	s_and_saveexec_b64 s[0:1], vcc
	s_cbranch_execz .LBB27_70
; %bb.67:
	s_mov_b64 s[4:5], 0
	v_mov_b32_e32 v6, 0
.LBB27_68:                              ; =>This Inner Loop Header: Depth=1
	v_add_u32_e32 v10, v6, v8
	v_ashrrev_i32_e32 v10, 1, v10
	v_lshl_add_u32 v11, v10, 2, v7
	ds_read_b32 v11, v11
	v_add_u32_e32 v12, 1, v10
	s_waitcnt lgkmcnt(0)
	v_cmp_gt_i32_e32 vcc, v11, v4
	v_cndmask_b32_e32 v6, v12, v6, vcc
	v_cndmask_b32_e32 v8, v8, v10, vcc
	v_cmp_ge_i32_e32 vcc, v6, v8
	s_or_b64 s[4:5], vcc, s[4:5]
	s_andn2_b64 exec, exec, s[4:5]
	s_cbranch_execnz .LBB27_68
; %bb.69:
	s_or_b64 exec, exec, s[4:5]
.LBB27_70:
	s_or_b64 exec, exec, s[0:1]
	s_waitcnt lgkmcnt(0)
	v_add_u32_e32 v4, v6, v9
	v_min_i32_e32 v6, v4, v0
	v_sub_u32_e32 v5, v5, v6
	v_add_u32_e32 v6, 1, v6
	v_cmp_eq_u32_e32 vcc, v5, v6
	v_cmp_lt_i32_e64 s[0:1], v0, v4
	s_and_b64 s[0:1], s[0:1], vcc
	v_cndmask_b32_e64 v4, 0, 1, s[0:1]
	v_add_u32_e32 v0, v5, v2
.LBB27_71:
	s_or_b64 exec, exec, s[2:3]
	v_add_u32_e32 v1, v4, v1
	v_sub_u32_e32 v7, v1, v0
	v_lshlrev_b32_e32 v2, 16, v20
	v_or_b32_e32 v2, v2, v21
	v_lshl_or_b32 v4, v0, 16, v7
	v_cmp_eq_u32_e64 s[0:1], 0, v16
	v_cndmask_b32_e64 v2, v4, v2, s[0:1]
	v_add_u32_e32 v4, -1, v16
	v_mov_b32_e32 v5, 0xff
	v_cndmask_b32_e64 v4, v4, v5, s[0:1]
	v_lshlrev_b32_e32 v4, 2, v4
	ds_write_b32 v4, v2 offset:18432
	v_add_u32_e32 v2, v7, v20
	s_waitcnt lgkmcnt(0)
	s_barrier
	v_lshlrev_b32_e32 v6, 2, v0
	v_lshlrev_b32_e32 v5, 2, v2
	ds_read_b32 v4, v3
	ds_read_b32 v17, v6 offset:19456
	ds_read_b32 v27, v5 offset:19456
	s_waitcnt lgkmcnt(2)
	v_cmp_le_i32_sdwa s[6:7], v4, v7 src0_sel:WORD_0 src1_sel:DWORD
	v_cmp_le_i32_sdwa s[4:5], sext(v4), v0 src0_sel:WORD_1 src1_sel:DWORD
	s_waitcnt lgkmcnt(0)
	v_cmp_lt_i32_e32 vcc, v27, v17
	v_cndmask_b32_e64 v3, 0, 1, vcc
	v_cndmask_b32_e64 v7, 0, 1, s[4:5]
	s_or_b64 s[2:3], s[4:5], s[6:7]
	v_cndmask_b32_e64 v3, v3, v7, s[2:3]
	v_and_b32_e32 v3, 1, v3
	v_cmp_eq_u32_e32 vcc, 1, v3
	s_xor_b64 s[10:11], vcc, -1
	v_mov_b32_e32 v28, v17
	s_and_saveexec_b64 s[8:9], s[10:11]
	s_cbranch_execz .LBB27_73
; %bb.72:
	ds_read_b32 v28, v6 offset:19460
	v_add_u32_e32 v0, 1, v0
.LBB27_73:
	s_or_b64 exec, exec, s[8:9]
	s_xor_b64 s[8:9], s[4:5], -1
	v_cmp_lt_i32_e64 s[4:5], v17, v27
	v_cndmask_b32_e64 v3, 0, 1, s[4:5]
	s_and_b64 s[4:5], s[6:7], s[8:9]
	v_cndmask_b32_e64 v6, 0, 1, s[4:5]
	v_cndmask_b32_e64 v3, v3, v6, s[2:3]
	v_and_b32_e32 v3, 1, v3
	v_cmp_eq_u32_e64 s[2:3], 1, v3
	s_xor_b64 s[6:7], s[2:3], -1
	v_mov_b32_e32 v29, v27
	s_and_saveexec_b64 s[4:5], s[6:7]
	s_cbranch_execz .LBB27_75
; %bb.74:
	ds_read_b32 v29, v5 offset:19460
	v_add_u32_e32 v2, 1, v2
.LBB27_75:
	s_or_b64 exec, exec, s[4:5]
	v_add_u32_sdwa v7, v4, v20 dst_sel:DWORD dst_unused:UNUSED_PAD src0_sel:WORD_0 src1_sel:DWORD
	v_cmp_ge_i32_e64 s[4:5], v2, v7
	v_cmp_ge_i32_sdwa s[8:9], v0, sext(v4) src0_sel:DWORD src1_sel:WORD_1
	s_waitcnt lgkmcnt(0)
	v_cmp_lt_i32_e64 s[6:7], v29, v28
	v_cndmask_b32_e64 v3, 0, 1, s[8:9]
	v_cndmask_b32_e64 v5, 0, 1, s[6:7]
	s_or_b64 s[6:7], s[8:9], s[4:5]
	v_cndmask_b32_e64 v3, v5, v3, s[6:7]
	v_and_b32_e32 v3, 1, v3
	v_cmp_eq_u32_e64 s[36:37], 1, v3
	s_xor_b64 s[10:11], s[36:37], -1
	v_mov_b32_e32 v30, v28
	v_mov_b32_e32 v3, v0
	s_and_saveexec_b64 s[6:7], s[10:11]
	s_cbranch_execz .LBB27_77
; %bb.76:
	v_lshlrev_b32_e32 v3, 2, v0
	ds_read_b32 v30, v3 offset:19460
	v_add_u32_e32 v3, 1, v0
.LBB27_77:
	s_or_b64 exec, exec, s[6:7]
	v_cmp_lt_i32_e64 s[6:7], v28, v29
	s_or_b64 s[4:5], s[4:5], s[6:7]
	s_xor_b64 s[6:7], s[8:9], -1
	s_and_b64 s[4:5], s[6:7], s[4:5]
	s_xor_b64 s[8:9], s[4:5], -1
	v_mov_b32_e32 v31, v29
	v_mov_b32_e32 v5, v2
	s_and_saveexec_b64 s[6:7], s[8:9]
	s_cbranch_execz .LBB27_79
; %bb.78:
	v_lshlrev_b32_e32 v5, 2, v2
	ds_read_b32 v31, v5 offset:19460
	v_add_u32_e32 v5, 1, v2
.LBB27_79:
	s_or_b64 exec, exec, s[6:7]
	v_cmp_ge_i32_e64 s[6:7], v5, v7
	v_cmp_ge_i32_sdwa s[10:11], v3, sext(v4) src0_sel:DWORD src1_sel:WORD_1
	s_waitcnt lgkmcnt(0)
	v_cmp_lt_i32_e64 s[8:9], v31, v30
	v_cndmask_b32_e64 v6, 0, 1, s[10:11]
	v_cndmask_b32_e64 v8, 0, 1, s[8:9]
	s_or_b64 s[8:9], s[10:11], s[6:7]
	v_cndmask_b32_e64 v6, v8, v6, s[8:9]
	v_and_b32_e32 v6, 1, v6
	v_cmp_eq_u32_e64 s[38:39], 1, v6
	s_xor_b64 s[12:13], s[38:39], -1
	v_mov_b32_e32 v32, v30
	v_mov_b32_e32 v6, v3
	s_and_saveexec_b64 s[8:9], s[12:13]
	s_cbranch_execz .LBB27_81
; %bb.80:
	v_lshlrev_b32_e32 v6, 2, v3
	ds_read_b32 v32, v6 offset:19460
	v_add_u32_e32 v6, 1, v3
.LBB27_81:
	s_or_b64 exec, exec, s[8:9]
	v_cmp_lt_i32_e64 s[8:9], v30, v31
	s_or_b64 s[6:7], s[6:7], s[8:9]
	s_xor_b64 s[8:9], s[10:11], -1
	s_and_b64 s[6:7], s[8:9], s[6:7]
	s_xor_b64 s[10:11], s[6:7], -1
	v_mov_b32_e32 v33, v31
	v_mov_b32_e32 v8, v5
	s_and_saveexec_b64 s[8:9], s[10:11]
	s_cbranch_execz .LBB27_83
; %bb.82:
	v_lshlrev_b32_e32 v8, 2, v5
	ds_read_b32 v33, v8 offset:19460
	v_add_u32_e32 v8, 1, v5
.LBB27_83:
	s_or_b64 exec, exec, s[8:9]
	v_cmp_ge_i32_e64 s[8:9], v8, v7
	v_cmp_ge_i32_sdwa s[12:13], v6, sext(v4) src0_sel:DWORD src1_sel:WORD_1
	s_waitcnt lgkmcnt(0)
	v_cmp_lt_i32_e64 s[10:11], v33, v32
	v_cndmask_b32_e64 v9, 0, 1, s[12:13]
	v_cndmask_b32_e64 v10, 0, 1, s[10:11]
	s_or_b64 s[10:11], s[12:13], s[8:9]
	v_cndmask_b32_e64 v9, v10, v9, s[10:11]
	v_and_b32_e32 v9, 1, v9
	v_cmp_eq_u32_e64 s[40:41], 1, v9
	s_xor_b64 s[14:15], s[40:41], -1
	v_mov_b32_e32 v34, v32
	v_mov_b32_e32 v9, v6
	s_and_saveexec_b64 s[10:11], s[14:15]
	s_cbranch_execz .LBB27_85
; %bb.84:
	v_lshlrev_b32_e32 v9, 2, v6
	ds_read_b32 v34, v9 offset:19460
	v_add_u32_e32 v9, 1, v6
.LBB27_85:
	s_or_b64 exec, exec, s[10:11]
	v_cmp_lt_i32_e64 s[10:11], v32, v33
	s_or_b64 s[8:9], s[8:9], s[10:11]
	s_xor_b64 s[10:11], s[12:13], -1
	s_and_b64 s[8:9], s[10:11], s[8:9]
	s_xor_b64 s[12:13], s[8:9], -1
	v_mov_b32_e32 v35, v33
	v_mov_b32_e32 v10, v8
	s_and_saveexec_b64 s[10:11], s[12:13]
	s_cbranch_execz .LBB27_87
; %bb.86:
	v_lshlrev_b32_e32 v10, 2, v8
	ds_read_b32 v35, v10 offset:19460
	v_add_u32_e32 v10, 1, v8
.LBB27_87:
	s_or_b64 exec, exec, s[10:11]
	v_cmp_ge_i32_e64 s[10:11], v10, v7
	v_cmp_ge_i32_sdwa s[14:15], v9, sext(v4) src0_sel:DWORD src1_sel:WORD_1
	s_waitcnt lgkmcnt(0)
	v_cmp_lt_i32_e64 s[12:13], v35, v34
	v_cndmask_b32_e64 v11, 0, 1, s[14:15]
	v_cndmask_b32_e64 v12, 0, 1, s[12:13]
	s_or_b64 s[12:13], s[14:15], s[10:11]
	v_cndmask_b32_e64 v11, v12, v11, s[12:13]
	v_and_b32_e32 v11, 1, v11
	v_cmp_eq_u32_e64 s[42:43], 1, v11
	s_xor_b64 s[16:17], s[42:43], -1
	v_mov_b32_e32 v36, v34
	v_mov_b32_e32 v11, v9
	s_and_saveexec_b64 s[12:13], s[16:17]
	s_cbranch_execz .LBB27_89
; %bb.88:
	v_lshlrev_b32_e32 v11, 2, v9
	ds_read_b32 v36, v11 offset:19460
	v_add_u32_e32 v11, 1, v9
.LBB27_89:
	s_or_b64 exec, exec, s[12:13]
	v_cmp_lt_i32_e64 s[12:13], v34, v35
	s_or_b64 s[10:11], s[10:11], s[12:13]
	s_xor_b64 s[12:13], s[14:15], -1
	s_and_b64 s[10:11], s[12:13], s[10:11]
	s_xor_b64 s[14:15], s[10:11], -1
	v_mov_b32_e32 v37, v35
	v_mov_b32_e32 v12, v10
	s_and_saveexec_b64 s[12:13], s[14:15]
	s_cbranch_execz .LBB27_91
; %bb.90:
	v_lshlrev_b32_e32 v12, 2, v10
	ds_read_b32 v37, v12 offset:19460
	v_add_u32_e32 v12, 1, v10
.LBB27_91:
	s_or_b64 exec, exec, s[12:13]
	v_cmp_ge_i32_e64 s[12:13], v12, v7
	v_cmp_ge_i32_sdwa s[16:17], v11, sext(v4) src0_sel:DWORD src1_sel:WORD_1
	s_waitcnt lgkmcnt(0)
	v_cmp_lt_i32_e64 s[14:15], v37, v36
	v_cndmask_b32_e64 v13, 0, 1, s[16:17]
	v_cndmask_b32_e64 v14, 0, 1, s[14:15]
	s_or_b64 s[14:15], s[16:17], s[12:13]
	v_cndmask_b32_e64 v13, v14, v13, s[14:15]
	v_and_b32_e32 v13, 1, v13
	v_cmp_eq_u32_e64 s[44:45], 1, v13
	s_xor_b64 s[18:19], s[44:45], -1
	v_mov_b32_e32 v38, v36
	v_mov_b32_e32 v13, v11
	s_and_saveexec_b64 s[14:15], s[18:19]
	s_cbranch_execz .LBB27_93
; %bb.92:
	v_lshlrev_b32_e32 v13, 2, v11
	ds_read_b32 v38, v13 offset:19460
	v_add_u32_e32 v13, 1, v11
.LBB27_93:
	s_or_b64 exec, exec, s[14:15]
	v_cmp_lt_i32_e64 s[14:15], v36, v37
	s_or_b64 s[12:13], s[12:13], s[14:15]
	s_xor_b64 s[14:15], s[16:17], -1
	s_and_b64 s[12:13], s[14:15], s[12:13]
	s_xor_b64 s[16:17], s[12:13], -1
	v_mov_b32_e32 v39, v37
	v_mov_b32_e32 v14, v12
	s_and_saveexec_b64 s[14:15], s[16:17]
	s_cbranch_execz .LBB27_95
; %bb.94:
	v_lshlrev_b32_e32 v14, 2, v12
	ds_read_b32 v39, v14 offset:19460
	v_add_u32_e32 v14, 1, v12
.LBB27_95:
	s_or_b64 exec, exec, s[14:15]
	v_cmp_ge_i32_e64 s[14:15], v14, v7
	v_cmp_ge_i32_sdwa s[18:19], v13, sext(v4) src0_sel:DWORD src1_sel:WORD_1
	s_waitcnt lgkmcnt(0)
	v_cmp_lt_i32_e64 s[16:17], v39, v38
	v_cndmask_b32_e64 v15, 0, 1, s[18:19]
	v_cndmask_b32_e64 v18, 0, 1, s[16:17]
	s_or_b64 s[16:17], s[18:19], s[14:15]
	v_cndmask_b32_e64 v15, v18, v15, s[16:17]
	v_and_b32_e32 v15, 1, v15
	v_cmp_eq_u32_e64 s[46:47], 1, v15
	s_xor_b64 s[20:21], s[46:47], -1
	v_mov_b32_e32 v40, v38
	v_mov_b32_e32 v15, v13
	s_and_saveexec_b64 s[16:17], s[20:21]
	s_cbranch_execz .LBB27_97
; %bb.96:
	v_lshlrev_b32_e32 v15, 2, v13
	ds_read_b32 v40, v15 offset:19460
	v_add_u32_e32 v15, 1, v13
.LBB27_97:
	s_or_b64 exec, exec, s[16:17]
	v_cmp_lt_i32_e64 s[16:17], v38, v39
	s_or_b64 s[14:15], s[14:15], s[16:17]
	s_xor_b64 s[16:17], s[18:19], -1
	s_and_b64 s[14:15], s[16:17], s[14:15]
	s_xor_b64 s[18:19], s[14:15], -1
	v_mov_b32_e32 v41, v39
	v_mov_b32_e32 v18, v14
	s_and_saveexec_b64 s[16:17], s[18:19]
	s_cbranch_execz .LBB27_99
; %bb.98:
	v_lshlrev_b32_e32 v18, 2, v14
	ds_read_b32 v41, v18 offset:19460
	v_add_u32_e32 v18, 1, v14
.LBB27_99:
	s_or_b64 exec, exec, s[16:17]
	v_cmp_ge_i32_e64 s[16:17], v18, v7
	v_cmp_ge_i32_sdwa s[20:21], v15, sext(v4) src0_sel:DWORD src1_sel:WORD_1
	s_waitcnt lgkmcnt(0)
	v_cmp_lt_i32_e64 s[18:19], v41, v40
	v_cndmask_b32_e64 v19, 0, 1, s[20:21]
	v_cndmask_b32_e64 v42, 0, 1, s[18:19]
	s_or_b64 s[18:19], s[20:21], s[16:17]
	v_cndmask_b32_e64 v19, v42, v19, s[18:19]
	v_and_b32_e32 v19, 1, v19
	v_cmp_eq_u32_e64 s[48:49], 1, v19
	s_xor_b64 s[22:23], s[48:49], -1
	v_mov_b32_e32 v42, v40
	v_mov_b32_e32 v19, v15
	s_and_saveexec_b64 s[18:19], s[22:23]
	s_cbranch_execz .LBB27_101
; %bb.100:
	v_lshlrev_b32_e32 v19, 2, v15
	ds_read_b32 v42, v19 offset:19460
	v_add_u32_e32 v19, 1, v15
.LBB27_101:
	s_or_b64 exec, exec, s[18:19]
	v_cmp_lt_i32_e64 s[18:19], v40, v41
	s_or_b64 s[16:17], s[16:17], s[18:19]
	s_xor_b64 s[18:19], s[20:21], -1
	s_and_b64 s[16:17], s[18:19], s[16:17]
	s_xor_b64 s[20:21], s[16:17], -1
	v_mov_b32_e32 v43, v41
	v_mov_b32_e32 v58, v18
	s_and_saveexec_b64 s[18:19], s[20:21]
	s_cbranch_execz .LBB27_103
; %bb.102:
	v_lshlrev_b32_e32 v43, 2, v18
	ds_read_b32 v43, v43 offset:19460
	v_add_u32_e32 v58, 1, v18
.LBB27_103:
	s_or_b64 exec, exec, s[18:19]
	v_cmp_ge_i32_e64 s[18:19], v58, v7
	v_cmp_ge_i32_sdwa s[22:23], v19, sext(v4) src0_sel:DWORD src1_sel:WORD_1
	s_waitcnt lgkmcnt(0)
	v_cmp_lt_i32_e64 s[20:21], v43, v42
	v_cndmask_b32_e64 v44, 0, 1, s[22:23]
	v_cndmask_b32_e64 v45, 0, 1, s[20:21]
	s_or_b64 s[20:21], s[22:23], s[18:19]
	v_cndmask_b32_e64 v44, v45, v44, s[20:21]
	v_and_b32_e32 v44, 1, v44
	v_cmp_eq_u32_e64 s[50:51], 1, v44
	s_xor_b64 s[24:25], s[50:51], -1
	v_mov_b32_e32 v44, v42
	v_mov_b32_e32 v59, v19
	s_and_saveexec_b64 s[20:21], s[24:25]
	s_cbranch_execz .LBB27_105
; %bb.104:
	v_lshlrev_b32_e32 v44, 2, v19
	ds_read_b32 v44, v44 offset:19460
	v_add_u32_e32 v59, 1, v19
.LBB27_105:
	s_or_b64 exec, exec, s[20:21]
	v_cmp_lt_i32_e64 s[20:21], v42, v43
	s_or_b64 s[18:19], s[18:19], s[20:21]
	s_xor_b64 s[20:21], s[22:23], -1
	s_and_b64 s[18:19], s[20:21], s[18:19]
	s_xor_b64 s[22:23], s[18:19], -1
	v_mov_b32_e32 v45, v43
	v_mov_b32_e32 v60, v58
	s_and_saveexec_b64 s[20:21], s[22:23]
	s_cbranch_execz .LBB27_107
; %bb.106:
	v_lshlrev_b32_e32 v45, 2, v58
	ds_read_b32 v45, v45 offset:19460
	v_add_u32_e32 v60, 1, v58
.LBB27_107:
	s_or_b64 exec, exec, s[20:21]
	v_cmp_ge_i32_e64 s[20:21], v60, v7
	v_cmp_ge_i32_sdwa s[24:25], v59, sext(v4) src0_sel:DWORD src1_sel:WORD_1
	s_waitcnt lgkmcnt(0)
	v_cmp_lt_i32_e64 s[22:23], v45, v44
	v_cndmask_b32_e64 v46, 0, 1, s[24:25]
	v_cndmask_b32_e64 v47, 0, 1, s[22:23]
	s_or_b64 s[22:23], s[24:25], s[20:21]
	v_cndmask_b32_e64 v46, v47, v46, s[22:23]
	v_and_b32_e32 v46, 1, v46
	v_cmp_eq_u32_e64 s[52:53], 1, v46
	s_xor_b64 s[26:27], s[52:53], -1
	v_mov_b32_e32 v46, v44
	v_mov_b32_e32 v61, v59
	s_and_saveexec_b64 s[22:23], s[26:27]
	s_cbranch_execz .LBB27_109
; %bb.108:
	v_lshlrev_b32_e32 v46, 2, v59
	ds_read_b32 v46, v46 offset:19460
	v_add_u32_e32 v61, 1, v59
.LBB27_109:
	s_or_b64 exec, exec, s[22:23]
	v_cmp_lt_i32_e64 s[22:23], v44, v45
	s_or_b64 s[20:21], s[20:21], s[22:23]
	s_xor_b64 s[22:23], s[24:25], -1
	s_and_b64 s[20:21], s[22:23], s[20:21]
	s_xor_b64 s[24:25], s[20:21], -1
	v_mov_b32_e32 v47, v45
	v_mov_b32_e32 v62, v60
	s_and_saveexec_b64 s[22:23], s[24:25]
	s_cbranch_execz .LBB27_111
; %bb.110:
	v_lshlrev_b32_e32 v47, 2, v60
	ds_read_b32 v47, v47 offset:19460
	v_add_u32_e32 v62, 1, v60
.LBB27_111:
	s_or_b64 exec, exec, s[22:23]
	v_cmp_ge_i32_e64 s[22:23], v62, v7
	v_cmp_ge_i32_sdwa s[26:27], v61, sext(v4) src0_sel:DWORD src1_sel:WORD_1
	s_waitcnt lgkmcnt(0)
	v_cmp_lt_i32_e64 s[24:25], v47, v46
	v_cndmask_b32_e64 v48, 0, 1, s[26:27]
	v_cndmask_b32_e64 v49, 0, 1, s[24:25]
	s_or_b64 s[24:25], s[26:27], s[22:23]
	v_cndmask_b32_e64 v48, v49, v48, s[24:25]
	v_and_b32_e32 v48, 1, v48
	v_cmp_eq_u32_e64 s[54:55], 1, v48
	s_xor_b64 s[28:29], s[54:55], -1
	v_mov_b32_e32 v48, v46
	v_mov_b32_e32 v63, v61
	s_and_saveexec_b64 s[24:25], s[28:29]
	s_cbranch_execz .LBB27_113
; %bb.112:
	v_lshlrev_b32_e32 v48, 2, v61
	ds_read_b32 v48, v48 offset:19460
	v_add_u32_e32 v63, 1, v61
.LBB27_113:
	s_or_b64 exec, exec, s[24:25]
	v_cmp_lt_i32_e64 s[24:25], v46, v47
	s_or_b64 s[22:23], s[22:23], s[24:25]
	s_xor_b64 s[24:25], s[26:27], -1
	s_and_b64 s[22:23], s[24:25], s[22:23]
	s_xor_b64 s[26:27], s[22:23], -1
	v_mov_b32_e32 v49, v47
	v_mov_b32_e32 v64, v62
	s_and_saveexec_b64 s[24:25], s[26:27]
	s_cbranch_execz .LBB27_115
; %bb.114:
	v_lshlrev_b32_e32 v49, 2, v62
	ds_read_b32 v49, v49 offset:19460
	v_add_u32_e32 v64, 1, v62
.LBB27_115:
	s_or_b64 exec, exec, s[24:25]
	v_cmp_ge_i32_e64 s[24:25], v64, v7
	v_cmp_ge_i32_sdwa s[28:29], v63, sext(v4) src0_sel:DWORD src1_sel:WORD_1
	s_waitcnt lgkmcnt(0)
	v_cmp_lt_i32_e64 s[26:27], v49, v48
	v_cndmask_b32_e64 v50, 0, 1, s[28:29]
	v_cndmask_b32_e64 v51, 0, 1, s[26:27]
	s_or_b64 s[26:27], s[28:29], s[24:25]
	v_cndmask_b32_e64 v50, v51, v50, s[26:27]
	v_and_b32_e32 v50, 1, v50
	v_cmp_eq_u32_e64 s[56:57], 1, v50
	s_xor_b64 s[30:31], s[56:57], -1
	v_mov_b32_e32 v50, v48
	v_mov_b32_e32 v65, v63
	s_and_saveexec_b64 s[26:27], s[30:31]
	s_cbranch_execz .LBB27_117
; %bb.116:
	v_lshlrev_b32_e32 v50, 2, v63
	ds_read_b32 v50, v50 offset:19460
	v_add_u32_e32 v65, 1, v63
.LBB27_117:
	s_or_b64 exec, exec, s[26:27]
	v_cmp_lt_i32_e64 s[26:27], v48, v49
	s_or_b64 s[24:25], s[24:25], s[26:27]
	s_xor_b64 s[26:27], s[28:29], -1
	s_and_b64 s[24:25], s[26:27], s[24:25]
	s_xor_b64 s[28:29], s[24:25], -1
	v_mov_b32_e32 v51, v49
	v_mov_b32_e32 v66, v64
	s_and_saveexec_b64 s[26:27], s[28:29]
	s_cbranch_execz .LBB27_119
; %bb.118:
	v_lshlrev_b32_e32 v51, 2, v64
	ds_read_b32 v51, v51 offset:19460
	v_add_u32_e32 v66, 1, v64
.LBB27_119:
	s_or_b64 exec, exec, s[26:27]
	v_cmp_ge_i32_e64 s[26:27], v66, v7
	v_cmp_ge_i32_sdwa s[30:31], v65, sext(v4) src0_sel:DWORD src1_sel:WORD_1
	s_waitcnt lgkmcnt(0)
	v_cmp_lt_i32_e64 s[28:29], v51, v50
	v_cndmask_b32_e64 v52, 0, 1, s[30:31]
	v_cndmask_b32_e64 v53, 0, 1, s[28:29]
	s_or_b64 s[28:29], s[30:31], s[26:27]
	v_cndmask_b32_e64 v52, v53, v52, s[28:29]
	v_and_b32_e32 v52, 1, v52
	v_cmp_eq_u32_e64 s[58:59], 1, v52
	s_xor_b64 s[34:35], s[58:59], -1
	v_mov_b32_e32 v52, v50
	v_mov_b32_e32 v67, v65
	s_and_saveexec_b64 s[28:29], s[34:35]
	s_cbranch_execz .LBB27_121
; %bb.120:
	v_lshlrev_b32_e32 v52, 2, v65
	ds_read_b32 v52, v52 offset:19460
	v_add_u32_e32 v67, 1, v65
.LBB27_121:
	s_or_b64 exec, exec, s[28:29]
	v_cmp_lt_i32_e64 s[28:29], v50, v51
	s_or_b64 s[26:27], s[26:27], s[28:29]
	s_xor_b64 s[28:29], s[30:31], -1
	s_and_b64 s[26:27], s[28:29], s[26:27]
	s_xor_b64 s[30:31], s[26:27], -1
	v_mov_b32_e32 v53, v51
	v_mov_b32_e32 v68, v66
	s_and_saveexec_b64 s[28:29], s[30:31]
	s_cbranch_execz .LBB27_123
; %bb.122:
	v_lshlrev_b32_e32 v53, 2, v66
	ds_read_b32 v53, v53 offset:19460
	v_add_u32_e32 v68, 1, v66
.LBB27_123:
	s_or_b64 exec, exec, s[28:29]
	v_cmp_ge_i32_e64 s[28:29], v68, v7
	v_cmp_ge_i32_sdwa s[34:35], v67, sext(v4) src0_sel:DWORD src1_sel:WORD_1
	s_waitcnt lgkmcnt(0)
	v_cmp_lt_i32_e64 s[30:31], v53, v52
	v_cndmask_b32_e64 v54, 0, 1, s[34:35]
	v_cndmask_b32_e64 v55, 0, 1, s[30:31]
	s_or_b64 s[30:31], s[34:35], s[28:29]
	v_cndmask_b32_e64 v54, v55, v54, s[30:31]
	v_and_b32_e32 v54, 1, v54
	v_cmp_eq_u32_e64 s[60:61], 1, v54
	s_xor_b64 s[62:63], s[60:61], -1
	v_mov_b32_e32 v54, v52
	v_mov_b32_e32 v69, v67
	s_and_saveexec_b64 s[30:31], s[62:63]
	s_cbranch_execz .LBB27_125
; %bb.124:
	v_lshlrev_b32_e32 v54, 2, v67
	ds_read_b32 v54, v54 offset:19460
	v_add_u32_e32 v69, 1, v67
.LBB27_125:
	s_or_b64 exec, exec, s[30:31]
	v_cmp_lt_i32_e64 s[30:31], v52, v53
	s_or_b64 s[28:29], s[28:29], s[30:31]
	s_xor_b64 s[30:31], s[34:35], -1
	s_and_b64 s[28:29], s[30:31], s[28:29]
	s_xor_b64 s[34:35], s[28:29], -1
	v_mov_b32_e32 v55, v53
	v_mov_b32_e32 v70, v68
	s_and_saveexec_b64 s[30:31], s[34:35]
	s_cbranch_execz .LBB27_127
; %bb.126:
	v_lshlrev_b32_e32 v55, 2, v68
	ds_read_b32 v55, v55 offset:19460
	v_add_u32_e32 v70, 1, v68
.LBB27_127:
	s_or_b64 exec, exec, s[30:31]
	v_cmp_ge_i32_e64 s[30:31], v70, v7
	v_cmp_ge_i32_sdwa s[64:65], v69, sext(v4) src0_sel:DWORD src1_sel:WORD_1
	s_waitcnt lgkmcnt(0)
	v_cmp_lt_i32_e64 s[34:35], v55, v54
	v_cndmask_b32_e64 v56, 0, 1, s[64:65]
	v_cndmask_b32_e64 v57, 0, 1, s[34:35]
	s_or_b64 s[34:35], s[64:65], s[30:31]
	v_cndmask_b32_e64 v56, v57, v56, s[34:35]
	v_and_b32_e32 v56, 1, v56
	v_cmp_eq_u32_e64 s[62:63], 1, v56
	s_xor_b64 s[66:67], s[62:63], -1
	v_mov_b32_e32 v56, v54
	v_mov_b32_e32 v71, v69
	s_and_saveexec_b64 s[34:35], s[66:67]
	s_cbranch_execz .LBB27_129
; %bb.128:
	v_lshlrev_b32_e32 v56, 2, v69
	ds_read_b32 v56, v56 offset:19460
	v_add_u32_e32 v71, 1, v69
.LBB27_129:
	s_or_b64 exec, exec, s[34:35]
	v_cmp_lt_i32_e64 s[34:35], v54, v55
	s_or_b64 s[30:31], s[30:31], s[34:35]
	s_xor_b64 s[34:35], s[64:65], -1
	s_and_b64 s[30:31], s[34:35], s[30:31]
	s_xor_b64 s[64:65], s[30:31], -1
	v_mov_b32_e32 v57, v55
	v_mov_b32_e32 v72, v70
	s_and_saveexec_b64 s[34:35], s[64:65]
	s_cbranch_execz .LBB27_131
; %bb.130:
	v_lshlrev_b32_e32 v57, 2, v70
	ds_read_b32 v57, v57 offset:19460
	v_add_u32_e32 v72, 1, v70
.LBB27_131:
	s_or_b64 exec, exec, s[34:35]
	v_cmp_ge_i32_e64 s[34:35], v72, v7
	v_cmp_ge_i32_sdwa s[78:79], v71, sext(v4) src0_sel:DWORD src1_sel:WORD_1
	s_waitcnt lgkmcnt(0)
	v_cmp_lt_i32_e64 s[66:67], v57, v56
	v_cndmask_b32_e64 v73, 0, 1, s[78:79]
	v_cndmask_b32_e64 v74, 0, 1, s[66:67]
	s_or_b64 s[66:67], s[78:79], s[34:35]
	v_cmp_lt_i32_e64 s[64:65], v56, v57
	v_cndmask_b32_e64 v73, v74, v73, s[66:67]
	v_cmp_lt_i32_sdwa s[76:77], v71, sext(v4) src0_sel:DWORD src1_sel:WORD_1
	v_and_b32_e32 v73, 1, v73
	s_or_b64 s[34:35], s[34:35], s[64:65]
	v_cmp_eq_u32_e64 s[66:67], 1, v73
	s_and_b64 s[34:35], s[76:77], s[34:35]
	v_add_u32_e32 v71, v72, v71
	v_add_u32_sdwa v4, v7, sext(v4) dst_sel:DWORD dst_unused:UNUSED_PAD src0_sel:DWORD src1_sel:WORD_1
	v_cmp_lt_i32_e64 s[64:65], v71, v4
	s_xor_b64 s[66:67], s[66:67], s[34:35]
	v_mov_b32_e32 v7, 0x8000
	s_and_b64 s[64:65], s[64:65], s[66:67]
	v_add_u32_e32 v69, v70, v69
	v_cndmask_b32_e64 v7, 0, v7, s[64:65]
	v_cmp_lt_i32_e64 s[64:65], v69, v4
	s_xor_b64 s[62:63], s[62:63], s[30:31]
	v_mov_b32_e32 v69, 0x4000
	s_and_b64 s[62:63], s[64:65], s[62:63]
	v_add_u32_e32 v67, v68, v67
	v_cndmask_b32_e64 v69, 0, v69, s[62:63]
	;; [unrolled: 6-line block ×9, first 2 shown]
	v_cmp_lt_i32_e64 s[48:49], v13, v4
	s_xor_b64 s[46:47], s[46:47], s[14:15]
	s_and_b64 s[46:47], s[48:49], s[46:47]
	v_add_u32_e32 v11, v12, v11
	v_cndmask_b32_e64 v13, 0, 64, s[46:47]
	v_cmp_lt_i32_e64 s[46:47], v11, v4
	s_xor_b64 s[44:45], s[44:45], s[12:13]
	v_add_u32_e32 v9, v10, v9
	s_and_b64 s[46:47], s[46:47], s[44:45]
	v_cmp_lt_i32_e64 s[44:45], v9, v4
	s_xor_b64 s[42:43], s[42:43], s[10:11]
	v_add_u32_e32 v6, v8, v6
	s_and_b64 s[44:45], s[44:45], s[42:43]
	v_cmp_lt_i32_e64 s[42:43], v6, v4
	s_xor_b64 s[40:41], s[40:41], s[8:9]
	v_add_u32_e32 v3, v5, v3
	s_and_b64 s[42:43], s[42:43], s[40:41]
	v_cmp_lt_i32_e64 s[40:41], v3, v4
	s_xor_b64 s[38:39], s[38:39], s[6:7]
	v_add_u32_e32 v0, v2, v0
	s_and_b64 s[48:49], s[40:41], s[38:39]
	v_cmp_lt_i32_e64 s[38:39], v0, v4
	s_xor_b64 s[36:37], s[36:37], s[4:5]
	v_add_u32_e32 v1, v1, v20
	s_and_b64 s[50:51], s[38:39], s[36:37]
	v_cmp_lt_i32_e64 s[36:37], v1, v4
	s_xor_b64 s[38:39], vcc, s[2:3]
	s_and_b64 s[52:53], s[36:37], s[38:39]
	v_cndmask_b32_e64 v3, 0, 4, s[48:49]
	v_cndmask_b32_e64 v0, 0, 2, s[50:51]
	;; [unrolled: 1-line block ×5, first 2 shown]
	v_or3_b32 v0, v0, v1, v3
	v_cndmask_b32_e64 v11, 0, 32, s[46:47]
	v_or3_b32 v0, v0, v6, v9
	v_or3_b32 v63, v0, v11, v13
	v_or_b32_e32 v62, v15, v63
	v_or3_b32 v61, v19, v59, v62
	v_or3_b32 v60, v66, v64, v61
	;; [unrolled: 1-line block ×4, first 2 shown]
	v_bcnt_u32_b32 v8, v58, 0
	s_cmp_lg_u32 s74, 0
	v_mov_b32_e32 v9, 0
	s_barrier
	s_cbranch_scc0 .LBB27_160
; %bb.132:
	v_mov_b32_dpp v1, v8 row_shr:1 row_mask:0xf bank_mask:0xf
	v_mbcnt_lo_u32_b32 v0, -1, 0
	v_add_co_u32_e32 v1, vcc, v1, v8
	v_mbcnt_hi_u32_b32 v18, -1, v0
	v_mov_b32_dpp v2, v9 row_shr:1 row_mask:0xf bank_mask:0xf
	v_addc_co_u32_e64 v3, s[36:37], 0, 0, vcc
	v_add_co_u32_e32 v4, vcc, 0, v1
	v_and_b32_e32 v0, 15, v18
	v_addc_co_u32_e32 v2, vcc, v2, v3, vcc
	v_cmp_eq_u32_e32 vcc, 0, v0
	v_cndmask_b32_e32 v1, v1, v8, vcc
	v_cndmask_b32_e64 v2, v2, 0, vcc
	v_cndmask_b32_e32 v3, v4, v8, vcc
	v_mov_b32_dpp v4, v1 row_shr:2 row_mask:0xf bank_mask:0xf
	v_mov_b32_dpp v5, v2 row_shr:2 row_mask:0xf bank_mask:0xf
	v_add_co_u32_e32 v4, vcc, v4, v3
	v_addc_co_u32_e32 v5, vcc, v5, v2, vcc
	v_cmp_lt_u32_e32 vcc, 1, v0
	v_cndmask_b32_e32 v1, v1, v4, vcc
	v_cndmask_b32_e32 v2, v2, v5, vcc
	v_cndmask_b32_e32 v3, v3, v4, vcc
	v_mov_b32_dpp v4, v1 row_shr:4 row_mask:0xf bank_mask:0xf
	v_mov_b32_dpp v5, v2 row_shr:4 row_mask:0xf bank_mask:0xf
	v_add_co_u32_e32 v4, vcc, v4, v3
	v_addc_co_u32_e32 v5, vcc, v5, v2, vcc
	v_cmp_lt_u32_e32 vcc, 3, v0
	v_cndmask_b32_e32 v1, v1, v4, vcc
	v_cndmask_b32_e32 v2, v2, v5, vcc
	;; [unrolled: 8-line block ×3, first 2 shown]
	v_cndmask_b32_e32 v2, v4, v6, vcc
	v_mov_b32_dpp v1, v0 row_bcast:15 row_mask:0xf bank_mask:0xf
	v_mov_b32_dpp v5, v3 row_bcast:15 row_mask:0xf bank_mask:0xf
	v_add_co_u32_e32 v4, vcc, v1, v2
	v_and_b32_e32 v7, 16, v18
	v_addc_co_u32_e32 v6, vcc, v5, v3, vcc
	v_cmp_eq_u32_e32 vcc, 0, v7
	v_cndmask_b32_e32 v1, v6, v3, vcc
	v_cndmask_b32_e32 v0, v4, v0, vcc
	v_cmp_eq_u32_e64 s[36:37], 0, v18
	v_mov_b32_dpp v7, v1 row_bcast:31 row_mask:0xf bank_mask:0xf
	v_mov_b32_dpp v5, v0 row_bcast:31 row_mask:0xf bank_mask:0xf
	v_cmp_ne_u32_e64 s[38:39], 0, v18
	v_pk_mov_b32 v[0:1], v[8:9], v[8:9] op_sel:[0,1]
	s_and_saveexec_b64 s[40:41], s[38:39]
; %bb.133:
	v_cndmask_b32_e32 v1, v6, v3, vcc
	v_cndmask_b32_e32 v0, v4, v2, vcc
	v_cmp_lt_u32_e32 vcc, 31, v18
	v_cndmask_b32_e32 v3, 0, v5, vcc
	v_cndmask_b32_e32 v2, 0, v7, vcc
	v_add_co_u32_e32 v0, vcc, v3, v0
	v_addc_co_u32_e32 v1, vcc, v2, v1, vcc
; %bb.134:
	s_or_b64 exec, exec, s[40:41]
	v_and_b32_e32 v3, 0x3c0, v16
	v_min_u32_e32 v3, 0xc0, v3
	v_lshrrev_b32_e32 v2, 6, v16
	v_or_b32_e32 v3, 63, v3
	v_cmp_eq_u32_e32 vcc, v3, v16
	v_lshlrev_b32_e32 v2, 3, v2
	s_and_saveexec_b64 s[38:39], vcc
	s_cbranch_execz .LBB27_136
; %bb.135:
	ds_write_b64 v2, v[0:1] offset:18432
.LBB27_136:
	s_or_b64 exec, exec, s[38:39]
	v_cmp_gt_u32_e32 vcc, 4, v16
	s_waitcnt lgkmcnt(0)
	s_barrier
	s_and_saveexec_b64 s[40:41], vcc
	s_cbranch_execz .LBB27_138
; %bb.137:
	v_lshlrev_b32_e32 v1, 3, v16
	ds_read_b64 v[4:5], v1 offset:18432
	v_and_b32_e32 v3, 3, v18
	v_cmp_ne_u32_e64 s[38:39], 1, v3
	s_waitcnt lgkmcnt(0)
	v_mov_b32_dpp v6, v4 row_shr:1 row_mask:0xf bank_mask:0xf
	v_add_co_u32_e32 v6, vcc, v4, v6
	v_addc_co_u32_e32 v10, vcc, 0, v5, vcc
	v_mov_b32_dpp v7, v5 row_shr:1 row_mask:0xf bank_mask:0xf
	v_add_co_u32_e32 v11, vcc, 0, v6
	v_addc_co_u32_e32 v7, vcc, v7, v10, vcc
	v_cmp_eq_u32_e32 vcc, 0, v3
	v_cndmask_b32_e32 v6, v6, v4, vcc
	v_cndmask_b32_e32 v10, v7, v5, vcc
	s_nop 0
	v_mov_b32_dpp v6, v6 row_shr:2 row_mask:0xf bank_mask:0xf
	v_mov_b32_dpp v10, v10 row_shr:2 row_mask:0xf bank_mask:0xf
	v_cndmask_b32_e64 v3, 0, v6, s[38:39]
	v_cndmask_b32_e64 v6, 0, v10, s[38:39]
	v_add_co_u32_e64 v3, s[38:39], v3, v11
	v_addc_co_u32_e64 v6, s[38:39], v6, v7, s[38:39]
	v_cndmask_b32_e32 v5, v6, v5, vcc
	v_cndmask_b32_e32 v4, v3, v4, vcc
	ds_write_b64 v1, v[4:5] offset:18432
.LBB27_138:
	s_or_b64 exec, exec, s[40:41]
	v_cmp_gt_u32_e32 vcc, 64, v16
	v_cmp_lt_u32_e64 s[38:39], 63, v16
	s_waitcnt lgkmcnt(0)
	s_barrier
	s_waitcnt lgkmcnt(0)
                                        ; implicit-def: $vgpr10_vgpr11
	s_and_saveexec_b64 s[40:41], s[38:39]
	s_cbranch_execz .LBB27_140
; %bb.139:
	ds_read_b64 v[10:11], v2 offset:18424
	s_waitcnt lgkmcnt(0)
	v_add_co_u32_e64 v0, s[38:39], v10, v0
.LBB27_140:
	s_or_b64 exec, exec, s[40:41]
	v_add_u32_e32 v1, -1, v18
	v_and_b32_e32 v2, 64, v18
	v_cmp_lt_i32_e64 s[38:39], v1, v2
	v_cndmask_b32_e64 v1, v1, v18, s[38:39]
	v_lshlrev_b32_e32 v1, 2, v1
	ds_bpermute_b32 v11, v1, v0
	s_and_saveexec_b64 s[54:55], vcc
	s_cbranch_execz .LBB27_159
; %bb.141:
	v_mov_b32_e32 v3, 0
	ds_read_b64 v[0:1], v3 offset:18456
	s_and_saveexec_b64 s[38:39], s[36:37]
	s_cbranch_execz .LBB27_143
; %bb.142:
	s_add_i32 s40, s74, 64
	s_mov_b32 s41, 0
	s_lshl_b64 s[40:41], s[40:41], 4
	s_add_u32 s40, s72, s40
	s_addc_u32 s41, s73, s41
	v_mov_b32_e32 v2, 1
	v_pk_mov_b32 v[4:5], s[40:41], s[40:41] op_sel:[0,1]
	s_waitcnt lgkmcnt(0)
	;;#ASMSTART
	global_store_dwordx4 v[4:5], v[0:3] off	
s_waitcnt vmcnt(0)
	;;#ASMEND
.LBB27_143:
	s_or_b64 exec, exec, s[38:39]
	v_xad_u32 v12, v18, -1, s74
	v_add_u32_e32 v2, 64, v12
	v_lshlrev_b64 v[4:5], 4, v[2:3]
	v_mov_b32_e32 v2, s73
	v_add_co_u32_e32 v14, vcc, s72, v4
	v_addc_co_u32_e32 v15, vcc, v2, v5, vcc
	;;#ASMSTART
	global_load_dwordx4 v[4:7], v[14:15] off glc	
s_waitcnt vmcnt(0)
	;;#ASMEND
	v_and_b32_e32 v2, 0xff, v5
	v_and_b32_e32 v7, 0xff00, v5
	;; [unrolled: 1-line block ×3, first 2 shown]
	v_or3_b32 v2, 0, v2, v7
	v_or3_b32 v4, v4, 0, 0
	v_and_b32_e32 v5, 0xff000000, v5
	v_or3_b32 v5, v2, v13, v5
	v_or3_b32 v4, v4, 0, 0
	v_cmp_eq_u16_sdwa s[40:41], v6, v3 src0_sel:BYTE_0 src1_sel:DWORD
	s_and_saveexec_b64 s[38:39], s[40:41]
	s_cbranch_execz .LBB27_147
; %bb.144:
	s_mov_b64 s[40:41], 0
	v_mov_b32_e32 v2, 0
.LBB27_145:                             ; =>This Inner Loop Header: Depth=1
	;;#ASMSTART
	global_load_dwordx4 v[4:7], v[14:15] off glc	
s_waitcnt vmcnt(0)
	;;#ASMEND
	v_cmp_ne_u16_sdwa s[56:57], v6, v2 src0_sel:BYTE_0 src1_sel:DWORD
	s_or_b64 s[40:41], s[56:57], s[40:41]
	s_andn2_b64 exec, exec, s[40:41]
	s_cbranch_execnz .LBB27_145
; %bb.146:
	s_or_b64 exec, exec, s[40:41]
.LBB27_147:
	s_or_b64 exec, exec, s[38:39]
	v_and_b32_e32 v65, 63, v18
	v_mov_b32_e32 v64, 2
	v_cmp_ne_u32_e32 vcc, 63, v65
	v_cmp_eq_u16_sdwa s[38:39], v6, v64 src0_sel:BYTE_0 src1_sel:DWORD
	v_lshlrev_b64 v[14:15], v18, -1
	v_addc_co_u32_e32 v7, vcc, 0, v18, vcc
	v_and_b32_e32 v2, s39, v15
	v_lshlrev_b32_e32 v66, 2, v7
	v_or_b32_e32 v2, 0x80000000, v2
	ds_bpermute_b32 v7, v66, v4
	v_and_b32_e32 v3, s38, v14
	v_ffbl_b32_e32 v2, v2
	v_add_u32_e32 v2, 32, v2
	v_ffbl_b32_e32 v3, v3
	v_min_u32_e32 v2, v3, v2
	ds_bpermute_b32 v3, v66, v5
	s_waitcnt lgkmcnt(1)
	v_add_co_u32_e32 v7, vcc, v4, v7
	v_addc_co_u32_e32 v19, vcc, 0, v5, vcc
	v_add_co_u32_e32 v68, vcc, 0, v7
	v_cmp_gt_u32_e64 s[38:39], 62, v65
	s_waitcnt lgkmcnt(0)
	v_addc_co_u32_e32 v3, vcc, v3, v19, vcc
	v_cndmask_b32_e64 v19, 0, 1, s[38:39]
	v_cmp_lt_u32_e32 vcc, v65, v2
	v_lshlrev_b32_e32 v19, 1, v19
	v_cndmask_b32_e32 v7, v4, v7, vcc
	v_add_lshl_u32 v67, v19, v18, 2
	v_cndmask_b32_e32 v3, v5, v3, vcc
	ds_bpermute_b32 v19, v67, v7
	ds_bpermute_b32 v69, v67, v3
	v_cndmask_b32_e32 v70, v4, v68, vcc
	v_add_u32_e32 v68, 2, v65
	v_cmp_gt_u32_e64 s[40:41], 60, v65
	s_waitcnt lgkmcnt(1)
	v_add_co_u32_e64 v19, s[38:39], v19, v70
	s_waitcnt lgkmcnt(0)
	v_addc_co_u32_e64 v69, s[38:39], v69, v3, s[38:39]
	v_cmp_gt_u32_e64 s[38:39], v68, v2
	v_cndmask_b32_e64 v3, v69, v3, s[38:39]
	v_cndmask_b32_e64 v69, 0, 1, s[40:41]
	v_lshlrev_b32_e32 v69, 2, v69
	v_cndmask_b32_e64 v7, v19, v7, s[38:39]
	v_add_lshl_u32 v69, v69, v18, 2
	ds_bpermute_b32 v71, v69, v7
	ds_bpermute_b32 v72, v69, v3
	v_cndmask_b32_e64 v19, v19, v70, s[38:39]
	v_add_u32_e32 v70, 4, v65
	v_cmp_gt_u32_e64 s[40:41], 56, v65
	s_waitcnt lgkmcnt(1)
	v_add_co_u32_e64 v73, s[38:39], v71, v19
	s_waitcnt lgkmcnt(0)
	v_addc_co_u32_e64 v71, s[38:39], v72, v3, s[38:39]
	v_cmp_gt_u32_e64 s[38:39], v70, v2
	v_cndmask_b32_e64 v3, v71, v3, s[38:39]
	v_cndmask_b32_e64 v71, 0, 1, s[40:41]
	v_lshlrev_b32_e32 v71, 3, v71
	v_cndmask_b32_e64 v7, v73, v7, s[38:39]
	v_add_lshl_u32 v71, v71, v18, 2
	ds_bpermute_b32 v74, v71, v7
	v_cndmask_b32_e64 v19, v73, v19, s[38:39]
	ds_bpermute_b32 v73, v71, v3
	v_add_u32_e32 v72, 8, v65
	v_cmp_gt_u32_e64 s[40:41], 48, v65
	s_waitcnt lgkmcnt(1)
	v_add_co_u32_e64 v74, s[38:39], v74, v19
	s_waitcnt lgkmcnt(0)
	v_addc_co_u32_e64 v73, s[38:39], v73, v3, s[38:39]
	v_cmp_gt_u32_e64 s[38:39], v72, v2
	v_cndmask_b32_e64 v3, v73, v3, s[38:39]
	v_cndmask_b32_e64 v73, 0, 1, s[40:41]
	v_lshlrev_b32_e32 v73, 4, v73
	v_cndmask_b32_e64 v7, v74, v7, s[38:39]
	v_add_lshl_u32 v73, v73, v18, 2
	ds_bpermute_b32 v75, v73, v7
	ds_bpermute_b32 v76, v73, v3
	v_cndmask_b32_e64 v19, v74, v19, s[38:39]
	v_cmp_gt_u32_e64 s[40:41], 32, v65
	v_add_u32_e32 v74, 16, v65
	s_waitcnt lgkmcnt(1)
	v_add_co_u32_e64 v77, s[38:39], v75, v19
	s_waitcnt lgkmcnt(0)
	v_addc_co_u32_e64 v76, s[38:39], v76, v3, s[38:39]
	v_cndmask_b32_e64 v75, 0, 1, s[40:41]
	v_cmp_gt_u32_e64 s[38:39], v74, v2
	v_lshlrev_b32_e32 v75, 5, v75
	v_cndmask_b32_e64 v7, v77, v7, s[38:39]
	v_add_lshl_u32 v75, v75, v18, 2
	v_cndmask_b32_e64 v3, v76, v3, s[38:39]
	ds_bpermute_b32 v7, v75, v7
	ds_bpermute_b32 v18, v75, v3
	v_add_u32_e32 v76, 32, v65
	v_cndmask_b32_e64 v19, v77, v19, s[38:39]
	v_cmp_le_u32_e64 s[38:39], v76, v2
	s_waitcnt lgkmcnt(1)
	v_cndmask_b32_e64 v7, 0, v7, s[38:39]
	s_waitcnt lgkmcnt(0)
	v_cndmask_b32_e64 v2, 0, v18, s[38:39]
	v_add_co_u32_e64 v7, s[38:39], v7, v19
	v_addc_co_u32_e64 v2, s[38:39], v2, v3, s[38:39]
	v_mov_b32_e32 v13, 0
	v_cndmask_b32_e32 v5, v5, v2, vcc
	v_cndmask_b32_e32 v4, v4, v7, vcc
	s_branch .LBB27_149
.LBB27_148:                             ;   in Loop: Header=BB27_149 Depth=1
	s_or_b64 exec, exec, s[38:39]
	v_cmp_eq_u16_sdwa s[38:39], v6, v64 src0_sel:BYTE_0 src1_sel:DWORD
	v_and_b32_e32 v7, s39, v15
	v_or_b32_e32 v7, 0x80000000, v7
	ds_bpermute_b32 v19, v66, v4
	v_and_b32_e32 v18, s38, v14
	v_ffbl_b32_e32 v7, v7
	v_add_u32_e32 v7, 32, v7
	v_ffbl_b32_e32 v18, v18
	v_min_u32_e32 v7, v18, v7
	ds_bpermute_b32 v18, v66, v5
	s_waitcnt lgkmcnt(1)
	v_add_co_u32_e32 v19, vcc, v4, v19
	v_addc_co_u32_e32 v77, vcc, 0, v5, vcc
	v_add_co_u32_e32 v78, vcc, 0, v19
	s_waitcnt lgkmcnt(0)
	v_addc_co_u32_e32 v18, vcc, v18, v77, vcc
	v_cmp_lt_u32_e32 vcc, v65, v7
	v_cndmask_b32_e32 v19, v4, v19, vcc
	ds_bpermute_b32 v77, v67, v19
	v_cndmask_b32_e32 v18, v5, v18, vcc
	ds_bpermute_b32 v79, v67, v18
	v_cndmask_b32_e32 v78, v4, v78, vcc
	v_subrev_u32_e32 v12, 64, v12
	s_waitcnt lgkmcnt(1)
	v_add_co_u32_e64 v77, s[38:39], v77, v78
	s_waitcnt lgkmcnt(0)
	v_addc_co_u32_e64 v79, s[38:39], v79, v18, s[38:39]
	v_cmp_gt_u32_e64 s[38:39], v68, v7
	v_cndmask_b32_e64 v19, v77, v19, s[38:39]
	ds_bpermute_b32 v80, v69, v19
	v_cndmask_b32_e64 v18, v79, v18, s[38:39]
	ds_bpermute_b32 v79, v69, v18
	v_cndmask_b32_e64 v77, v77, v78, s[38:39]
	s_waitcnt lgkmcnt(1)
	v_add_co_u32_e64 v78, s[38:39], v80, v77
	s_waitcnt lgkmcnt(0)
	v_addc_co_u32_e64 v79, s[38:39], v79, v18, s[38:39]
	v_cmp_gt_u32_e64 s[38:39], v70, v7
	v_cndmask_b32_e64 v19, v78, v19, s[38:39]
	ds_bpermute_b32 v80, v71, v19
	v_cndmask_b32_e64 v18, v79, v18, s[38:39]
	ds_bpermute_b32 v79, v71, v18
	v_cndmask_b32_e64 v77, v78, v77, s[38:39]
	;; [unrolled: 10-line block ×3, first 2 shown]
	s_waitcnt lgkmcnt(1)
	v_add_co_u32_e64 v78, s[38:39], v80, v77
	s_waitcnt lgkmcnt(0)
	v_addc_co_u32_e64 v79, s[38:39], v79, v18, s[38:39]
	v_cmp_gt_u32_e64 s[38:39], v74, v7
	v_cndmask_b32_e64 v19, v78, v19, s[38:39]
	v_cndmask_b32_e64 v18, v79, v18, s[38:39]
	ds_bpermute_b32 v19, v75, v19
	ds_bpermute_b32 v79, v75, v18
	v_cndmask_b32_e64 v77, v78, v77, s[38:39]
	v_cmp_le_u32_e64 s[38:39], v76, v7
	s_waitcnt lgkmcnt(1)
	v_cndmask_b32_e64 v19, 0, v19, s[38:39]
	s_waitcnt lgkmcnt(0)
	v_cndmask_b32_e64 v7, 0, v79, s[38:39]
	v_add_co_u32_e64 v19, s[38:39], v19, v77
	v_addc_co_u32_e64 v7, s[38:39], v7, v18, s[38:39]
	v_cndmask_b32_e32 v4, v4, v19, vcc
	v_cndmask_b32_e32 v5, v5, v7, vcc
	v_add_co_u32_e32 v4, vcc, v4, v2
	v_addc_co_u32_e32 v5, vcc, v5, v3, vcc
.LBB27_149:                             ; =>This Loop Header: Depth=1
                                        ;     Child Loop BB27_152 Depth 2
	v_cmp_ne_u16_sdwa s[38:39], v6, v64 src0_sel:BYTE_0 src1_sel:DWORD
	v_cndmask_b32_e64 v2, 0, 1, s[38:39]
	;;#ASMSTART
	;;#ASMEND
	v_cmp_ne_u32_e32 vcc, 0, v2
	s_cmp_lg_u64 vcc, exec
	v_pk_mov_b32 v[2:3], v[4:5], v[4:5] op_sel:[0,1]
	s_cbranch_scc1 .LBB27_154
; %bb.150:                              ;   in Loop: Header=BB27_149 Depth=1
	v_lshlrev_b64 v[4:5], 4, v[12:13]
	v_mov_b32_e32 v6, s73
	v_add_co_u32_e32 v18, vcc, s72, v4
	v_addc_co_u32_e32 v19, vcc, v6, v5, vcc
	;;#ASMSTART
	global_load_dwordx4 v[4:7], v[18:19] off glc	
s_waitcnt vmcnt(0)
	;;#ASMEND
	v_and_b32_e32 v7, 0xff, v5
	v_and_b32_e32 v77, 0xff00, v5
	;; [unrolled: 1-line block ×3, first 2 shown]
	v_or3_b32 v7, 0, v7, v77
	v_or3_b32 v4, v4, 0, 0
	v_and_b32_e32 v5, 0xff000000, v5
	v_or3_b32 v5, v7, v78, v5
	v_or3_b32 v4, v4, 0, 0
	v_cmp_eq_u16_sdwa s[40:41], v6, v13 src0_sel:BYTE_0 src1_sel:DWORD
	s_and_saveexec_b64 s[38:39], s[40:41]
	s_cbranch_execz .LBB27_148
; %bb.151:                              ;   in Loop: Header=BB27_149 Depth=1
	s_mov_b64 s[40:41], 0
.LBB27_152:                             ;   Parent Loop BB27_149 Depth=1
                                        ; =>  This Inner Loop Header: Depth=2
	;;#ASMSTART
	global_load_dwordx4 v[4:7], v[18:19] off glc	
s_waitcnt vmcnt(0)
	;;#ASMEND
	v_cmp_ne_u16_sdwa s[56:57], v6, v13 src0_sel:BYTE_0 src1_sel:DWORD
	s_or_b64 s[40:41], s[56:57], s[40:41]
	s_andn2_b64 exec, exec, s[40:41]
	s_cbranch_execnz .LBB27_152
; %bb.153:                              ;   in Loop: Header=BB27_149 Depth=1
	s_or_b64 exec, exec, s[40:41]
	s_branch .LBB27_148
.LBB27_154:                             ;   in Loop: Header=BB27_149 Depth=1
                                        ; implicit-def: $vgpr4_vgpr5
                                        ; implicit-def: $vgpr6
	s_cbranch_execz .LBB27_149
; %bb.155:
	s_and_saveexec_b64 s[38:39], s[36:37]
	s_cbranch_execz .LBB27_157
; %bb.156:
	s_add_i32 s40, s74, 64
	s_mov_b32 s41, 0
	s_lshl_b64 s[40:41], s[40:41], 4
	s_add_u32 s40, s72, s40
	v_add_co_u32_e32 v4, vcc, v2, v0
	s_addc_u32 s41, s73, s41
	v_addc_co_u32_e32 v5, vcc, v3, v1, vcc
	v_mov_b32_e32 v6, 2
	v_mov_b32_e32 v7, 0
	v_pk_mov_b32 v[12:13], s[40:41], s[40:41] op_sel:[0,1]
	;;#ASMSTART
	global_store_dwordx4 v[12:13], v[4:7] off	
s_waitcnt vmcnt(0)
	;;#ASMEND
	ds_write_b128 v7, v[0:3] offset:18464
.LBB27_157:
	s_or_b64 exec, exec, s[38:39]
	s_and_b64 exec, exec, s[0:1]
	s_cbranch_execz .LBB27_159
; %bb.158:
	v_mov_b32_e32 v0, 0
	ds_write_b64 v0, v[2:3] offset:18456
.LBB27_159:
	s_or_b64 exec, exec, s[54:55]
	v_mov_b32_e32 v0, 0
	s_waitcnt lgkmcnt(0)
	v_cndmask_b32_e64 v1, v11, v10, s[36:37]
	s_barrier
	ds_read_b64 v[2:3], v0 offset:18456
	s_waitcnt lgkmcnt(0)
	v_cndmask_b32_e64 v3, v1, 0, s[0:1]
	s_barrier
	ds_read_b64 v[0:1], v0 offset:18472
	v_add_co_u32_e32 v4, vcc, v2, v3
	s_movk_i32 s33, 0x4820
	s_branch .LBB27_170
.LBB27_160:
                                        ; implicit-def: $vgpr0_vgpr1
                                        ; implicit-def: $sgpr33
                                        ; implicit-def: $vgpr4_vgpr5
	s_cbranch_execz .LBB27_170
; %bb.161:
	v_mov_b32_dpp v2, v8 row_shr:1 row_mask:0xf bank_mask:0xf
	s_waitcnt lgkmcnt(0)
	v_mov_b32_e32 v0, 0
	v_mbcnt_lo_u32_b32 v1, -1, 0
	v_add_co_u32_e32 v2, vcc, v2, v8
	v_mbcnt_hi_u32_b32 v4, -1, v1
	v_mov_b32_dpp v0, v0 row_shr:1 row_mask:0xf bank_mask:0xf
	v_addc_co_u32_e64 v3, s[36:37], 0, 0, vcc
	v_add_co_u32_e32 v5, vcc, 0, v2
	v_and_b32_e32 v1, 15, v4
	v_addc_co_u32_e32 v0, vcc, v0, v3, vcc
	v_cmp_eq_u32_e32 vcc, 0, v1
	v_cndmask_b32_e32 v2, v2, v8, vcc
	v_cndmask_b32_e64 v0, v0, 0, vcc
	v_cndmask_b32_e32 v3, v5, v8, vcc
	v_mov_b32_dpp v5, v2 row_shr:2 row_mask:0xf bank_mask:0xf
	v_mov_b32_dpp v6, v0 row_shr:2 row_mask:0xf bank_mask:0xf
	v_add_co_u32_e32 v5, vcc, v5, v3
	v_addc_co_u32_e32 v6, vcc, v6, v0, vcc
	v_cmp_lt_u32_e32 vcc, 1, v1
	v_cndmask_b32_e32 v2, v2, v5, vcc
	v_cndmask_b32_e32 v0, v0, v6, vcc
	v_cndmask_b32_e32 v3, v3, v5, vcc
	v_mov_b32_dpp v5, v2 row_shr:4 row_mask:0xf bank_mask:0xf
	v_mov_b32_dpp v6, v0 row_shr:4 row_mask:0xf bank_mask:0xf
	v_add_co_u32_e32 v5, vcc, v5, v3
	v_addc_co_u32_e32 v6, vcc, v6, v0, vcc
	v_cmp_lt_u32_e32 vcc, 3, v1
	v_cndmask_b32_e32 v2, v2, v5, vcc
	v_cndmask_b32_e32 v0, v0, v6, vcc
	;; [unrolled: 8-line block ×3, first 2 shown]
	v_cndmask_b32_e32 v0, v3, v5, vcc
	v_mov_b32_dpp v3, v1 row_bcast:15 row_mask:0xf bank_mask:0xf
	v_mov_b32_dpp v2, v6 row_bcast:15 row_mask:0xf bank_mask:0xf
	v_and_b32_e32 v7, 16, v4
	v_add_co_u32_e32 v2, vcc, v2, v0
	v_addc_co_u32_e32 v5, vcc, v3, v1, vcc
	v_cmp_eq_u32_e64 s[36:37], 0, v7
	v_cndmask_b32_e64 v7, v5, v1, s[36:37]
	v_cndmask_b32_e64 v3, v2, v6, s[36:37]
	v_cmp_eq_u32_e32 vcc, 0, v4
	v_mov_b32_dpp v6, v7 row_bcast:31 row_mask:0xf bank_mask:0xf
	v_mov_b32_dpp v3, v3 row_bcast:31 row_mask:0xf bank_mask:0xf
	v_cmp_ne_u32_e64 s[38:39], 0, v4
	s_and_saveexec_b64 s[40:41], s[38:39]
; %bb.162:
	v_cndmask_b32_e64 v1, v5, v1, s[36:37]
	v_cndmask_b32_e64 v0, v2, v0, s[36:37]
	v_cmp_lt_u32_e64 s[36:37], 31, v4
	v_cndmask_b32_e64 v3, 0, v3, s[36:37]
	v_cndmask_b32_e64 v2, 0, v6, s[36:37]
	v_add_co_u32_e64 v8, s[36:37], v3, v0
	v_addc_co_u32_e64 v9, s[36:37], v2, v1, s[36:37]
; %bb.163:
	s_or_b64 exec, exec, s[40:41]
	v_and_b32_e32 v1, 0x3c0, v16
	v_min_u32_e32 v1, 0xc0, v1
	v_lshrrev_b32_e32 v0, 6, v16
	v_or_b32_e32 v1, 63, v1
	v_cmp_eq_u32_e64 s[36:37], v1, v16
	v_lshlrev_b32_e32 v5, 3, v0
	s_and_saveexec_b64 s[38:39], s[36:37]
	s_cbranch_execz .LBB27_165
; %bb.164:
	ds_write_b64 v5, v[8:9] offset:18432
.LBB27_165:
	s_or_b64 exec, exec, s[38:39]
	v_cmp_gt_u32_e64 s[36:37], 4, v16
	s_waitcnt lgkmcnt(0)
	s_barrier
	s_and_saveexec_b64 s[40:41], s[36:37]
	s_cbranch_execz .LBB27_167
; %bb.166:
	v_lshlrev_b32_e32 v2, 3, v16
	ds_read_b64 v[0:1], v2 offset:18432
	v_and_b32_e32 v3, 3, v4
	v_cmp_ne_u32_e64 s[38:39], 1, v3
	s_waitcnt lgkmcnt(0)
	v_mov_b32_dpp v6, v0 row_shr:1 row_mask:0xf bank_mask:0xf
	v_add_co_u32_e64 v6, s[36:37], v0, v6
	v_addc_co_u32_e64 v9, s[36:37], 0, v1, s[36:37]
	v_mov_b32_dpp v7, v1 row_shr:1 row_mask:0xf bank_mask:0xf
	v_add_co_u32_e64 v10, s[36:37], 0, v6
	v_addc_co_u32_e64 v7, s[36:37], v7, v9, s[36:37]
	v_cmp_eq_u32_e64 s[36:37], 0, v3
	v_cndmask_b32_e64 v6, v6, v0, s[36:37]
	v_cndmask_b32_e64 v9, v7, v1, s[36:37]
	s_nop 0
	v_mov_b32_dpp v6, v6 row_shr:2 row_mask:0xf bank_mask:0xf
	v_mov_b32_dpp v9, v9 row_shr:2 row_mask:0xf bank_mask:0xf
	v_cndmask_b32_e64 v3, 0, v6, s[38:39]
	v_cndmask_b32_e64 v6, 0, v9, s[38:39]
	v_add_co_u32_e64 v3, s[38:39], v3, v10
	v_addc_co_u32_e64 v6, s[38:39], v6, v7, s[38:39]
	v_cndmask_b32_e64 v1, v6, v1, s[36:37]
	v_cndmask_b32_e64 v0, v3, v0, s[36:37]
	ds_write_b64 v2, v[0:1] offset:18432
.LBB27_167:
	s_or_b64 exec, exec, s[40:41]
	v_pk_mov_b32 v[0:1], 0, 0
	v_cmp_lt_u32_e64 s[36:37], 63, v16
	v_pk_mov_b32 v[2:3], v[0:1], v[0:1] op_sel:[0,1]
	s_waitcnt lgkmcnt(0)
	s_barrier
	s_and_saveexec_b64 s[38:39], s[36:37]
	s_cbranch_execz .LBB27_169
; %bb.168:
	ds_read_b64 v[2:3], v5 offset:18424
.LBB27_169:
	s_or_b64 exec, exec, s[38:39]
	v_add_u32_e32 v5, -1, v4
	v_and_b32_e32 v6, 64, v4
	v_cmp_lt_i32_e64 s[36:37], v5, v6
	v_cndmask_b32_e64 v4, v5, v4, s[36:37]
	s_waitcnt lgkmcnt(0)
	v_add_u32_e32 v3, v2, v8
	v_lshlrev_b32_e32 v4, 2, v4
	ds_bpermute_b32 v3, v4, v3
	s_movk_i32 s33, 0x4818
	s_waitcnt lgkmcnt(0)
	v_cndmask_b32_e32 v4, v3, v2, vcc
.LBB27_170:
	v_mov_b32_e32 v2, s33
	ds_read_b64 v[2:3], v2
	s_waitcnt lgkmcnt(1)
	v_sub_u32_e32 v4, v4, v0
	s_waitcnt lgkmcnt(0)
	s_barrier
	s_and_saveexec_b64 s[36:37], s[52:53]
	s_cbranch_execnz .LBB27_221
; %bb.171:
	s_or_b64 exec, exec, s[36:37]
	s_and_saveexec_b64 s[2:3], s[50:51]
	s_cbranch_execnz .LBB27_222
.LBB27_172:
	s_or_b64 exec, exec, s[2:3]
	s_and_saveexec_b64 s[2:3], s[48:49]
	s_cbranch_execnz .LBB27_223
.LBB27_173:
	s_or_b64 exec, exec, s[2:3]
	s_and_saveexec_b64 s[2:3], s[42:43]
	s_cbranch_execnz .LBB27_224
.LBB27_174:
	s_or_b64 exec, exec, s[2:3]
	s_and_saveexec_b64 s[2:3], s[44:45]
	s_cbranch_execnz .LBB27_225
.LBB27_175:
	s_or_b64 exec, exec, s[2:3]
	s_and_saveexec_b64 s[2:3], s[46:47]
	s_cbranch_execz .LBB27_177
.LBB27_176:
	v_cndmask_b32_e64 v5, v37, v36, s[12:13]
	v_lshlrev_b32_e32 v6, 2, v4
	v_add_u32_e32 v4, 1, v4
	ds_write_b32 v6, v5 offset:19456
.LBB27_177:
	s_or_b64 exec, exec, s[2:3]
	v_and_b32_e32 v5, 64, v63
	v_cmp_ne_u32_e32 vcc, 0, v5
	s_and_saveexec_b64 s[2:3], vcc
	s_cbranch_execz .LBB27_179
; %bb.178:
	v_cndmask_b32_e64 v5, v39, v38, s[14:15]
	v_lshlrev_b32_e32 v6, 2, v4
	v_add_u32_e32 v4, 1, v4
	ds_write_b32 v6, v5 offset:19456
.LBB27_179:
	s_or_b64 exec, exec, s[2:3]
	v_and_b32_e32 v5, 0x80, v62
	v_cmp_ne_u32_e32 vcc, 0, v5
	s_and_saveexec_b64 s[2:3], vcc
	s_cbranch_execz .LBB27_181
; %bb.180:
	v_cndmask_b32_e64 v5, v41, v40, s[16:17]
	v_lshlrev_b32_e32 v6, 2, v4
	v_add_u32_e32 v4, 1, v4
	ds_write_b32 v6, v5 offset:19456
.LBB27_181:
	;; [unrolled: 11-line block ×9, first 2 shown]
	s_or_b64 exec, exec, s[2:3]
	v_and_b32_e32 v5, 0x8000, v58
	v_cmp_ne_u32_e32 vcc, 0, v5
	s_and_saveexec_b64 s[2:3], vcc
	s_cbranch_execz .LBB27_197
; %bb.196:
	v_cndmask_b32_e64 v5, v57, v56, s[34:35]
	v_lshlrev_b32_e32 v4, 2, v4
	ds_write_b32 v4, v5 offset:19456
.LBB27_197:
	s_or_b64 exec, exec, s[2:3]
	v_cmp_lt_i32_e32 vcc, v16, v2
	s_waitcnt lgkmcnt(0)
	s_barrier
	s_and_saveexec_b64 s[4:5], vcc
	s_cbranch_execz .LBB27_205
; %bb.198:
	v_xad_u32 v7, v16, -1, v2
	s_movk_i32 s2, 0xff
	v_cmp_lt_u32_e32 vcc, s2, v7
	s_mov_b64 s[2:3], -1
	v_lshlrev_b64 v[4:5], 2, v[0:1]
	v_mov_b32_e32 v6, v16
	s_and_saveexec_b64 s[6:7], vcc
	s_cbranch_execz .LBB27_202
; %bb.199:
	v_lshrrev_b32_e32 v6, 8, v7
	v_add_u32_e32 v10, 1, v6
	v_mov_b32_e32 v6, s69
	v_add_co_u32_e32 v12, vcc, s68, v4
	v_and_b32_e32 v11, 0x1fffffe, v10
	v_add_u32_e32 v17, 0x100, v16
	v_addc_co_u32_e32 v13, vcc, v6, v5, vcc
	s_mov_b64 s[8:9], 0
	v_mov_b32_e32 v7, 0
	v_mov_b32_e32 v14, v11
	v_pk_mov_b32 v[8:9], v[16:17], v[16:17] op_sel:[0,1]
.LBB27_200:                             ; =>This Inner Loop Header: Depth=1
	ds_read2st64_b32 v[18:19], v26 offset1:4
	v_mov_b32_e32 v6, v8
	v_add_u32_e32 v14, -2, v14
	v_lshlrev_b64 v[28:29], 2, v[6:7]
	v_mov_b32_e32 v6, v9
	v_cmp_eq_u32_e32 vcc, 0, v14
	v_add_co_u32_e64 v28, s[2:3], v12, v28
	v_lshlrev_b64 v[30:31], 2, v[6:7]
	v_add_u32_e32 v8, 0x200, v8
	v_add_u32_e32 v26, 0x800, v26
	;; [unrolled: 1-line block ×3, first 2 shown]
	v_addc_co_u32_e64 v29, s[2:3], v13, v29, s[2:3]
	s_or_b64 s[8:9], vcc, s[8:9]
	v_add_co_u32_e32 v30, vcc, v12, v30
	v_addc_co_u32_e32 v31, vcc, v13, v31, vcc
	s_waitcnt lgkmcnt(0)
	global_store_dword v[28:29], v18, off
	global_store_dword v[30:31], v19, off
	s_andn2_b64 exec, exec, s[8:9]
	s_cbranch_execnz .LBB27_200
; %bb.201:
	s_or_b64 exec, exec, s[8:9]
	v_cmp_ne_u32_e32 vcc, v10, v11
	v_lshl_add_u32 v6, v11, 8, v16
	s_orn2_b64 s[2:3], vcc, exec
.LBB27_202:
	s_or_b64 exec, exec, s[6:7]
	s_and_b64 exec, exec, s[2:3]
	s_cbranch_execz .LBB27_205
; %bb.203:
	v_mov_b32_e32 v7, 0x4c00
	v_lshl_add_u32 v8, v6, 2, v7
	v_mov_b32_e32 v7, 0
	v_lshlrev_b64 v[10:11], 2, v[6:7]
	v_mov_b32_e32 v7, s69
	v_add_co_u32_e32 v4, vcc, s68, v4
	v_addc_co_u32_e32 v5, vcc, v7, v5, vcc
	v_add_co_u32_e32 v4, vcc, v4, v10
	v_addc_co_u32_e32 v5, vcc, v5, v11, vcc
	s_mov_b64 s[2:3], 0
.LBB27_204:                             ; =>This Inner Loop Header: Depth=1
	ds_read_b32 v7, v8
	v_add_u32_e32 v6, 0x100, v6
	v_cmp_ge_i32_e32 vcc, v6, v2
	s_or_b64 s[2:3], vcc, s[2:3]
	v_add_u32_e32 v8, 0x400, v8
	s_waitcnt lgkmcnt(0)
	global_store_dword v[4:5], v7, off
	v_add_co_u32_e32 v4, vcc, 0x400, v4
	v_addc_co_u32_e32 v5, vcc, 0, v5, vcc
	s_andn2_b64 exec, exec, s[2:3]
	s_cbranch_execnz .LBB27_204
.LBB27_205:
	s_or_b64 exec, exec, s[4:5]
	s_and_saveexec_b64 s[2:3], s[0:1]
	s_cbranch_execz .LBB27_207
; %bb.206:
	v_add_co_u32_e32 v0, vcc, v2, v0
	v_mov_b32_e32 v4, 0
	v_addc_co_u32_e32 v1, vcc, v3, v1, vcc
	global_store_dwordx2 v4, v[0:1], s[70:71]
.LBB27_207:
	s_or_b64 exec, exec, s[2:3]
	s_mov_b64 s[0:1], 0
.LBB27_208:
	s_and_b64 vcc, exec, s[0:1]
	s_cbranch_vccz .LBB27_388
; %bb.209:
	v_lshlrev_b32_e32 v2, 2, v16
	v_sub_u32_e32 v4, v16, v20
	v_add_co_u32_e32 v3, vcc, v24, v2
	v_ashrrev_i32_e32 v5, 31, v4
	v_addc_co_u32_e32 v1, vcc, 0, v25, vcc
	v_lshlrev_b64 v[4:5], 2, v[4:5]
	v_add_co_u32_e32 v0, vcc, v22, v4
	v_addc_co_u32_e32 v4, vcc, v23, v5, vcc
	v_cmp_lt_i32_e32 vcc, v16, v20
	v_cndmask_b32_e32 v5, v4, v1, vcc
	v_cndmask_b32_e32 v4, v0, v3, vcc
	global_load_dword v0, v[4:5], off
	v_ashrrev_i32_e32 v5, 31, v20
	v_sub_co_u32_e32 v4, vcc, v16, v20
	v_subb_co_u32_e32 v5, vcc, 0, v5, vcc
	v_lshlrev_b64 v[4:5], 2, v[4:5]
	v_add_co_u32_e32 v8, vcc, v22, v4
	v_add_u32_e32 v6, 0x100, v16
	v_addc_co_u32_e32 v9, vcc, v23, v5, vcc
	v_cmp_lt_i32_e32 vcc, v6, v20
	v_cndmask_b32_e32 v5, v9, v1, vcc
	v_cndmask_b32_e32 v4, v8, v3, vcc
	global_load_dword v4, v[4:5], off offset:1024
	v_add_u32_e32 v5, 0x200, v16
	v_cmp_lt_i32_e32 vcc, v5, v20
	v_cndmask_b32_e32 v7, v9, v1, vcc
	v_cndmask_b32_e32 v6, v8, v3, vcc
	global_load_dword v5, v[6:7], off offset:2048
	v_add_u32_e32 v6, 0x300, v16
	v_cmp_lt_i32_e32 vcc, v6, v20
	v_cndmask_b32_e32 v7, v9, v1, vcc
	v_cndmask_b32_e32 v6, v8, v3, vcc
	global_load_dword v6, v[6:7], off offset:3072
	v_or_b32_e32 v7, 0x400, v16
	v_lshlrev_b32_e32 v8, 2, v7
	v_add_co_u32_e32 v10, vcc, v24, v8
	v_sub_u32_e32 v8, v7, v20
	v_ashrrev_i32_e32 v9, 31, v8
	v_addc_co_u32_e32 v11, vcc, 0, v25, vcc
	v_lshlrev_b64 v[8:9], 2, v[8:9]
	v_add_co_u32_e32 v8, vcc, v22, v8
	v_addc_co_u32_e32 v9, vcc, v23, v9, vcc
	v_cmp_lt_i32_e32 vcc, v7, v20
	v_cndmask_b32_e32 v9, v9, v11, vcc
	v_cndmask_b32_e32 v8, v8, v10, vcc
	v_add_u32_e32 v10, 0x500, v16
	global_load_dword v7, v[8:9], off
	s_movk_i32 s0, 0x1400
	v_sub_u32_e32 v8, v10, v20
	v_add_co_u32_e32 v11, vcc, s0, v3
	v_ashrrev_i32_e32 v9, 31, v8
	v_addc_co_u32_e32 v12, vcc, 0, v1, vcc
	v_lshlrev_b64 v[8:9], 2, v[8:9]
	v_add_co_u32_e32 v8, vcc, v22, v8
	v_addc_co_u32_e32 v9, vcc, v23, v9, vcc
	v_cmp_lt_i32_e32 vcc, v10, v20
	v_cndmask_b32_e32 v9, v9, v12, vcc
	v_cndmask_b32_e32 v8, v8, v11, vcc
	global_load_dword v8, v[8:9], off
	v_add_u32_e32 v9, 0x600, v16
	s_movk_i32 s0, 0x1800
	v_sub_u32_e32 v10, v9, v20
	v_add_co_u32_e32 v12, vcc, s0, v3
	v_ashrrev_i32_e32 v11, 31, v10
	v_addc_co_u32_e32 v13, vcc, 0, v1, vcc
	v_lshlrev_b64 v[10:11], 2, v[10:11]
	v_add_co_u32_e32 v10, vcc, v22, v10
	v_addc_co_u32_e32 v11, vcc, v23, v11, vcc
	v_cmp_lt_i32_e32 vcc, v9, v20
	v_cndmask_b32_e32 v11, v11, v13, vcc
	v_cndmask_b32_e32 v10, v10, v12, vcc
	v_add_u32_e32 v12, 0x700, v16
	global_load_dword v9, v[10:11], off
	s_movk_i32 s0, 0x1c00
	v_sub_u32_e32 v10, v12, v20
	v_add_co_u32_e32 v13, vcc, s0, v3
	v_ashrrev_i32_e32 v11, 31, v10
	v_addc_co_u32_e32 v14, vcc, 0, v1, vcc
	v_lshlrev_b64 v[10:11], 2, v[10:11]
	v_add_co_u32_e32 v10, vcc, v22, v10
	v_addc_co_u32_e32 v11, vcc, v23, v11, vcc
	v_cmp_lt_i32_e32 vcc, v12, v20
	v_cndmask_b32_e32 v11, v11, v14, vcc
	v_cndmask_b32_e32 v10, v10, v13, vcc
	global_load_dword v10, v[10:11], off
	v_or_b32_e32 v11, 0x800, v16
	v_lshlrev_b32_e32 v12, 2, v11
	v_add_co_u32_e32 v14, vcc, v24, v12
	v_sub_u32_e32 v12, v11, v20
	v_ashrrev_i32_e32 v13, 31, v12
	v_addc_co_u32_e32 v15, vcc, 0, v25, vcc
	v_lshlrev_b64 v[12:13], 2, v[12:13]
	v_add_co_u32_e32 v12, vcc, v22, v12
	v_addc_co_u32_e32 v13, vcc, v23, v13, vcc
	v_cmp_lt_i32_e32 vcc, v11, v20
	v_cndmask_b32_e32 v13, v13, v15, vcc
	v_cndmask_b32_e32 v12, v12, v14, vcc
	v_add_u32_e32 v14, 0x900, v16
	global_load_dword v11, v[12:13], off
	s_movk_i32 s0, 0x2400
	v_sub_u32_e32 v12, v14, v20
	v_add_co_u32_e32 v15, vcc, s0, v3
	v_ashrrev_i32_e32 v13, 31, v12
	v_addc_co_u32_e32 v17, vcc, 0, v1, vcc
	v_lshlrev_b64 v[12:13], 2, v[12:13]
	v_add_co_u32_e32 v12, vcc, v22, v12
	v_addc_co_u32_e32 v13, vcc, v23, v13, vcc
	v_cmp_lt_i32_e32 vcc, v14, v20
	v_cndmask_b32_e32 v13, v13, v17, vcc
	v_cndmask_b32_e32 v12, v12, v15, vcc
	global_load_dword v12, v[12:13], off
	v_add_u32_e32 v13, 0xa00, v16
	s_movk_i32 s0, 0x2800
	v_sub_u32_e32 v14, v13, v20
	v_add_co_u32_e32 v17, vcc, s0, v3
	v_ashrrev_i32_e32 v15, 31, v14
	v_addc_co_u32_e32 v18, vcc, 0, v1, vcc
	v_lshlrev_b64 v[14:15], 2, v[14:15]
	v_add_co_u32_e32 v14, vcc, v22, v14
	v_addc_co_u32_e32 v15, vcc, v23, v15, vcc
	v_cmp_lt_i32_e32 vcc, v13, v20
	v_cndmask_b32_e32 v15, v15, v18, vcc
	v_cndmask_b32_e32 v14, v14, v17, vcc
	v_add_u32_e32 v17, 0xb00, v16
	global_load_dword v13, v[14:15], off
	s_movk_i32 s0, 0x2c00
	v_sub_u32_e32 v14, v17, v20
	v_add_co_u32_e32 v18, vcc, s0, v3
	v_ashrrev_i32_e32 v15, 31, v14
	v_addc_co_u32_e32 v19, vcc, 0, v1, vcc
	v_lshlrev_b64 v[14:15], 2, v[14:15]
	v_add_co_u32_e32 v14, vcc, v22, v14
	v_addc_co_u32_e32 v15, vcc, v23, v15, vcc
	v_cmp_lt_i32_e32 vcc, v17, v20
	v_cndmask_b32_e32 v15, v15, v19, vcc
	v_cndmask_b32_e32 v14, v14, v18, vcc
	global_load_dword v14, v[14:15], off
	v_or_b32_e32 v15, 0xc00, v16
	v_lshlrev_b32_e32 v17, 2, v15
	v_sub_u32_e32 v18, v15, v20
	v_add_co_u32_e32 v17, vcc, v24, v17
	v_ashrrev_i32_e32 v19, 31, v18
	v_addc_co_u32_e32 v24, vcc, 0, v25, vcc
	v_lshlrev_b64 v[18:19], 2, v[18:19]
	v_add_co_u32_e32 v18, vcc, v22, v18
	v_addc_co_u32_e32 v19, vcc, v23, v19, vcc
	v_cmp_lt_i32_e32 vcc, v15, v20
	v_cndmask_b32_e32 v19, v19, v24, vcc
	v_cndmask_b32_e32 v18, v18, v17, vcc
	v_add_u32_e32 v17, 0xd00, v16
	global_load_dword v15, v[18:19], off
	s_movk_i32 s0, 0x3400
	v_sub_u32_e32 v18, v17, v20
	v_add_co_u32_e32 v24, vcc, s0, v3
	v_ashrrev_i32_e32 v19, 31, v18
	v_addc_co_u32_e32 v25, vcc, 0, v1, vcc
	v_lshlrev_b64 v[18:19], 2, v[18:19]
	v_add_co_u32_e32 v18, vcc, v22, v18
	v_addc_co_u32_e32 v19, vcc, v23, v19, vcc
	v_cmp_lt_i32_e32 vcc, v17, v20
	v_add_u32_e32 v17, 0xe00, v16
	v_cndmask_b32_e32 v19, v19, v25, vcc
	v_cndmask_b32_e32 v18, v18, v24, vcc
	s_movk_i32 s0, 0x3800
	v_sub_u32_e32 v24, v17, v20
	global_load_dword v18, v[18:19], off
	v_add_co_u32_e32 v19, vcc, s0, v3
	v_ashrrev_i32_e32 v25, 31, v24
	v_addc_co_u32_e32 v26, vcc, 0, v1, vcc
	v_lshlrev_b64 v[24:25], 2, v[24:25]
	v_add_co_u32_e32 v24, vcc, v22, v24
	v_addc_co_u32_e32 v25, vcc, v23, v25, vcc
	v_cmp_lt_i32_e32 vcc, v17, v20
	v_cndmask_b32_e32 v25, v25, v26, vcc
	v_cndmask_b32_e32 v24, v24, v19, vcc
	global_load_dword v24, v[24:25], off
	v_add_u32_e32 v25, 0xf00, v16
	v_add_u32_e32 v19, v21, v20
	v_mov_b32_e32 v17, 0
	v_cmp_lt_i32_e32 vcc, v25, v19
                                        ; implicit-def: $vgpr26
	s_and_saveexec_b64 s[0:1], vcc
	s_cbranch_execz .LBB27_211
; %bb.210:
	v_sub_u32_e32 v26, v25, v20
	v_add_co_u32_e32 v3, vcc, 0x3c00, v3
	v_ashrrev_i32_e32 v27, 31, v26
	v_addc_co_u32_e32 v1, vcc, 0, v1, vcc
	v_lshlrev_b64 v[26:27], 2, v[26:27]
	v_add_co_u32_e32 v22, vcc, v22, v26
	v_addc_co_u32_e32 v23, vcc, v23, v27, vcc
	v_cmp_lt_i32_e32 vcc, v25, v20
	v_cndmask_b32_e32 v23, v23, v1, vcc
	v_cndmask_b32_e32 v22, v22, v3, vcc
	global_load_dword v26, v[22:23], off
.LBB27_211:
	s_or_b64 exec, exec, s[0:1]
	s_waitcnt vmcnt(13)
	ds_write2st64_b32 v2, v0, v4 offset0:4 offset1:8
	s_waitcnt vmcnt(11)
	ds_write2st64_b32 v2, v5, v6 offset0:12 offset1:16
	;; [unrolled: 2-line block ×8, first 2 shown]
	v_lshlrev_b32_e32 v0, 4, v16
	v_min_i32_e32 v1, v19, v0
	v_sub_u32_e32 v0, v1, v21
	v_max_i32_e32 v0, 0, v0
	v_min_i32_e32 v4, v20, v1
	v_lshlrev_b32_e32 v3, 2, v20
	v_cmp_lt_i32_e32 vcc, v0, v4
	s_waitcnt lgkmcnt(0)
	s_barrier
	s_and_saveexec_b64 s[0:1], vcc
	s_cbranch_execz .LBB27_215
; %bb.212:
	v_lshl_add_u32 v5, v1, 2, v3
	v_add_u32_e32 v5, 0x400, v5
	s_mov_b64 s[2:3], 0
.LBB27_213:                             ; =>This Inner Loop Header: Depth=1
	v_add_u32_e32 v6, v4, v0
	v_ashrrev_i32_e32 v6, 1, v6
	v_not_b32_e32 v8, v6
	v_lshlrev_b32_e32 v7, 2, v6
	v_lshl_add_u32 v8, v8, 2, v5
	ds_read_b32 v7, v7 offset:1024
	ds_read_b32 v8, v8
	v_add_u32_e32 v9, 1, v6
	s_waitcnt lgkmcnt(0)
	v_cmp_lt_i32_e32 vcc, v8, v7
	v_cndmask_b32_e32 v4, v4, v6, vcc
	v_cndmask_b32_e32 v0, v9, v0, vcc
	v_cmp_ge_i32_e32 vcc, v0, v4
	s_or_b64 s[2:3], vcc, s[2:3]
	s_andn2_b64 exec, exec, s[2:3]
	s_cbranch_execnz .LBB27_213
; %bb.214:
	s_or_b64 exec, exec, s[2:3]
.LBB27_215:
	s_or_b64 exec, exec, s[0:1]
	v_sub_u32_e32 v6, v1, v0
	v_add_u32_e32 v22, 0x400, v2
	v_cmp_lt_i32_e32 vcc, v6, v21
	v_mov_b32_e32 v5, 0
	s_and_saveexec_b64 s[2:3], vcc
	s_cbranch_execz .LBB27_250
; %bb.216:
	v_lshl_add_u32 v7, v6, 2, v3
	ds_read_b32 v5, v7 offset:1024
	v_cmp_lt_i32_e32 vcc, 0, v0
	v_mov_b32_e32 v4, 0
	v_mov_b32_e32 v8, v0
	s_and_saveexec_b64 s[0:1], vcc
	s_cbranch_execnz .LBB27_226
; %bb.217:
	s_or_b64 exec, exec, s[0:1]
	v_cmp_lt_i32_e32 vcc, v4, v8
	s_and_saveexec_b64 s[0:1], vcc
	s_cbranch_execnz .LBB27_227
.LBB27_218:
	s_or_b64 exec, exec, s[0:1]
	v_cmp_lt_i32_e32 vcc, v4, v8
	s_and_saveexec_b64 s[0:1], vcc
	s_cbranch_execnz .LBB27_228
.LBB27_219:
	s_or_b64 exec, exec, s[0:1]
	v_cmp_lt_i32_e32 vcc, v4, v8
	s_and_saveexec_b64 s[0:1], vcc
	s_cbranch_execnz .LBB27_229
.LBB27_220:
	s_or_b64 exec, exec, s[0:1]
	v_cmp_lt_i32_e32 vcc, v4, v8
	s_and_saveexec_b64 s[0:1], vcc
	s_cbranch_execnz .LBB27_230
	s_branch .LBB27_233
.LBB27_221:
	v_cndmask_b32_e64 v5, v27, v17, s[2:3]
	v_lshlrev_b32_e32 v6, 2, v4
	v_add_u32_e32 v4, 1, v4
	ds_write_b32 v6, v5 offset:19456
	s_or_b64 exec, exec, s[36:37]
	s_and_saveexec_b64 s[2:3], s[50:51]
	s_cbranch_execz .LBB27_172
.LBB27_222:
	v_cndmask_b32_e64 v5, v29, v28, s[4:5]
	v_lshlrev_b32_e32 v6, 2, v4
	v_add_u32_e32 v4, 1, v4
	ds_write_b32 v6, v5 offset:19456
	s_or_b64 exec, exec, s[2:3]
	s_and_saveexec_b64 s[2:3], s[48:49]
	s_cbranch_execz .LBB27_173
.LBB27_223:
	v_cndmask_b32_e64 v5, v31, v30, s[6:7]
	v_lshlrev_b32_e32 v6, 2, v4
	v_add_u32_e32 v4, 1, v4
	ds_write_b32 v6, v5 offset:19456
	s_or_b64 exec, exec, s[2:3]
	s_and_saveexec_b64 s[2:3], s[42:43]
	s_cbranch_execz .LBB27_174
.LBB27_224:
	v_cndmask_b32_e64 v5, v33, v32, s[8:9]
	v_lshlrev_b32_e32 v6, 2, v4
	v_add_u32_e32 v4, 1, v4
	ds_write_b32 v6, v5 offset:19456
	s_or_b64 exec, exec, s[2:3]
	s_and_saveexec_b64 s[2:3], s[44:45]
	s_cbranch_execz .LBB27_175
.LBB27_225:
	v_cndmask_b32_e64 v5, v35, v34, s[10:11]
	v_lshlrev_b32_e32 v6, 2, v4
	v_add_u32_e32 v4, 1, v4
	ds_write_b32 v6, v5 offset:19456
	s_or_b64 exec, exec, s[2:3]
	s_and_saveexec_b64 s[2:3], s[46:47]
	s_cbranch_execnz .LBB27_176
	s_branch .LBB27_177
.LBB27_226:
	s_movk_i32 s4, 0x1ff
	v_mul_lo_u32 v4, v0, s4
	v_ashrrev_i32_e32 v8, 9, v4
	v_lshlrev_b32_e32 v4, 2, v8
	ds_read_b32 v4, v4 offset:1024
	v_add_u32_e32 v9, 1, v8
	s_waitcnt lgkmcnt(0)
	v_cmp_lt_i32_e32 vcc, v4, v5
	v_cndmask_b32_e32 v4, 0, v9, vcc
	v_cndmask_b32_e32 v8, v8, v0, vcc
	s_or_b64 exec, exec, s[0:1]
	v_cmp_lt_i32_e32 vcc, v4, v8
	s_and_saveexec_b64 s[0:1], vcc
	s_cbranch_execz .LBB27_218
.LBB27_227:
	v_sub_u32_e32 v9, v4, v8
	v_lshl_add_u32 v9, v8, 7, v9
	v_ashrrev_i32_e32 v9, 7, v9
	v_lshlrev_b32_e32 v10, 2, v9
	ds_read_b32 v10, v10 offset:1024
	v_add_u32_e32 v11, 1, v9
	s_waitcnt lgkmcnt(0)
	v_cmp_lt_i32_e32 vcc, v10, v5
	v_cndmask_b32_e32 v4, v4, v11, vcc
	v_cndmask_b32_e32 v8, v9, v8, vcc
	s_or_b64 exec, exec, s[0:1]
	v_cmp_lt_i32_e32 vcc, v4, v8
	s_and_saveexec_b64 s[0:1], vcc
	s_cbranch_execz .LBB27_219
.LBB27_228:
	v_sub_u32_e32 v9, v4, v8
	v_lshl_add_u32 v9, v8, 5, v9
	v_ashrrev_i32_e32 v9, 5, v9
	v_lshlrev_b32_e32 v10, 2, v9
	ds_read_b32 v10, v10 offset:1024
	v_add_u32_e32 v11, 1, v9
	s_waitcnt lgkmcnt(0)
	v_cmp_lt_i32_e32 vcc, v10, v5
	v_cndmask_b32_e32 v4, v4, v11, vcc
	v_cndmask_b32_e32 v8, v9, v8, vcc
	s_or_b64 exec, exec, s[0:1]
	v_cmp_lt_i32_e32 vcc, v4, v8
	s_and_saveexec_b64 s[0:1], vcc
	s_cbranch_execz .LBB27_220
.LBB27_229:
	v_sub_u32_e32 v9, v4, v8
	v_lshl_add_u32 v9, v8, 4, v9
	v_ashrrev_i32_e32 v9, 4, v9
	v_lshlrev_b32_e32 v10, 2, v9
	ds_read_b32 v10, v10 offset:1024
	v_add_u32_e32 v11, 1, v9
	s_waitcnt lgkmcnt(0)
	v_cmp_lt_i32_e32 vcc, v10, v5
	v_cndmask_b32_e32 v4, v4, v11, vcc
	v_cndmask_b32_e32 v8, v9, v8, vcc
	s_or_b64 exec, exec, s[0:1]
	v_cmp_lt_i32_e32 vcc, v4, v8
	s_and_saveexec_b64 s[0:1], vcc
	s_cbranch_execz .LBB27_233
.LBB27_230:
	s_mov_b64 s[4:5], 0
.LBB27_231:                             ; =>This Inner Loop Header: Depth=1
	v_sub_u32_e32 v9, v4, v8
	v_lshl_add_u32 v9, v8, 1, v9
	v_ashrrev_i32_e32 v9, 1, v9
	v_lshlrev_b32_e32 v10, 2, v9
	ds_read_b32 v10, v10 offset:1024
	v_add_u32_e32 v11, 1, v9
	s_waitcnt lgkmcnt(0)
	v_cmp_lt_i32_e32 vcc, v10, v5
	v_cndmask_b32_e32 v4, v4, v11, vcc
	v_cndmask_b32_e32 v8, v9, v8, vcc
	v_cmp_ge_i32_e32 vcc, v4, v8
	s_or_b64 s[4:5], vcc, s[4:5]
	s_andn2_b64 exec, exec, s[4:5]
	s_cbranch_execnz .LBB27_231
; %bb.232:
	s_or_b64 exec, exec, s[4:5]
.LBB27_233:
	s_or_b64 exec, exec, s[0:1]
	v_add_u32_e32 v7, 0x400, v7
	v_cmp_lt_i32_e32 vcc, 0, v6
	v_mov_b32_e32 v8, 0
	v_mov_b32_e32 v9, v6
	s_and_saveexec_b64 s[0:1], vcc
	s_cbranch_execnz .LBB27_238
; %bb.234:
	s_or_b64 exec, exec, s[0:1]
	v_cmp_lt_i32_e32 vcc, v8, v9
	s_and_saveexec_b64 s[0:1], vcc
	s_cbranch_execnz .LBB27_239
.LBB27_235:
	s_or_b64 exec, exec, s[0:1]
	v_cmp_lt_i32_e32 vcc, v8, v9
	s_and_saveexec_b64 s[0:1], vcc
	s_cbranch_execnz .LBB27_240
.LBB27_236:
	s_or_b64 exec, exec, s[0:1]
	v_cmp_lt_i32_e32 vcc, v8, v9
	s_and_saveexec_b64 s[0:1], vcc
	s_cbranch_execnz .LBB27_241
.LBB27_237:
	s_or_b64 exec, exec, s[0:1]
	v_cmp_lt_i32_e32 vcc, v8, v9
	s_and_saveexec_b64 s[0:1], vcc
	s_cbranch_execnz .LBB27_242
	s_branch .LBB27_245
.LBB27_238:
	s_movk_i32 s4, 0x1ff
	v_mul_lo_u32 v8, v6, s4
	v_ashrrev_i32_e32 v9, 9, v8
	v_lshl_add_u32 v8, v9, 2, v3
	ds_read_b32 v8, v8 offset:1024
	v_add_u32_e32 v10, 1, v9
	s_waitcnt lgkmcnt(0)
	v_cmp_lt_i32_e32 vcc, v8, v5
	v_cndmask_b32_e32 v8, 0, v10, vcc
	v_cndmask_b32_e32 v9, v9, v6, vcc
	s_or_b64 exec, exec, s[0:1]
	v_cmp_lt_i32_e32 vcc, v8, v9
	s_and_saveexec_b64 s[0:1], vcc
	s_cbranch_execz .LBB27_235
.LBB27_239:
	v_sub_u32_e32 v10, v8, v9
	v_lshl_add_u32 v10, v9, 7, v10
	v_ashrrev_i32_e32 v10, 7, v10
	v_lshl_add_u32 v11, v10, 2, v3
	ds_read_b32 v11, v11 offset:1024
	v_add_u32_e32 v12, 1, v10
	s_waitcnt lgkmcnt(0)
	v_cmp_lt_i32_e32 vcc, v11, v5
	v_cndmask_b32_e32 v8, v8, v12, vcc
	v_cndmask_b32_e32 v9, v10, v9, vcc
	s_or_b64 exec, exec, s[0:1]
	v_cmp_lt_i32_e32 vcc, v8, v9
	s_and_saveexec_b64 s[0:1], vcc
	s_cbranch_execz .LBB27_236
.LBB27_240:
	v_sub_u32_e32 v10, v8, v9
	v_lshl_add_u32 v10, v9, 5, v10
	v_ashrrev_i32_e32 v10, 5, v10
	v_lshl_add_u32 v11, v10, 2, v3
	ds_read_b32 v11, v11 offset:1024
	v_add_u32_e32 v12, 1, v10
	s_waitcnt lgkmcnt(0)
	v_cmp_lt_i32_e32 vcc, v11, v5
	v_cndmask_b32_e32 v8, v8, v12, vcc
	v_cndmask_b32_e32 v9, v10, v9, vcc
	s_or_b64 exec, exec, s[0:1]
	v_cmp_lt_i32_e32 vcc, v8, v9
	s_and_saveexec_b64 s[0:1], vcc
	s_cbranch_execz .LBB27_237
.LBB27_241:
	v_sub_u32_e32 v10, v8, v9
	v_lshl_add_u32 v10, v9, 4, v10
	v_ashrrev_i32_e32 v10, 4, v10
	v_lshl_add_u32 v11, v10, 2, v3
	ds_read_b32 v11, v11 offset:1024
	v_add_u32_e32 v12, 1, v10
	s_waitcnt lgkmcnt(0)
	v_cmp_lt_i32_e32 vcc, v11, v5
	v_cndmask_b32_e32 v8, v8, v12, vcc
	v_cndmask_b32_e32 v9, v10, v9, vcc
	s_or_b64 exec, exec, s[0:1]
	v_cmp_lt_i32_e32 vcc, v8, v9
	s_and_saveexec_b64 s[0:1], vcc
	s_cbranch_execz .LBB27_245
.LBB27_242:
	v_add_u32_e32 v10, 0x400, v3
	s_mov_b64 s[4:5], 0
.LBB27_243:                             ; =>This Inner Loop Header: Depth=1
	v_sub_u32_e32 v11, v8, v9
	v_lshl_add_u32 v11, v9, 1, v11
	v_ashrrev_i32_e32 v11, 1, v11
	v_lshl_add_u32 v12, v11, 2, v10
	ds_read_b32 v12, v12
	v_add_u32_e32 v13, 1, v11
	s_waitcnt lgkmcnt(0)
	v_cmp_lt_i32_e32 vcc, v12, v5
	v_cndmask_b32_e32 v8, v8, v13, vcc
	v_cndmask_b32_e32 v9, v11, v9, vcc
	v_cmp_ge_i32_e32 vcc, v8, v9
	s_or_b64 s[4:5], vcc, s[4:5]
	s_andn2_b64 exec, exec, s[4:5]
	s_cbranch_execnz .LBB27_243
; %bb.244:
	s_or_b64 exec, exec, s[4:5]
.LBB27_245:
	s_or_b64 exec, exec, s[0:1]
	v_sub_u32_e32 v0, v0, v4
	v_sub_u32_e32 v10, v6, v8
	v_add_u32_e32 v9, v10, v0
	v_ashrrev_i32_e32 v0, 1, v9
	v_max_i32_e32 v0, v0, v10
	v_add3_u32 v8, v8, v0, 1
	v_min_i32_e32 v8, v8, v21
	v_sub_u32_e32 v8, v8, v6
	v_cmp_lt_i32_e32 vcc, 0, v8
	v_mov_b32_e32 v6, 0
	s_and_saveexec_b64 s[0:1], vcc
	s_cbranch_execz .LBB27_249
; %bb.246:
	s_mov_b64 s[4:5], 0
	v_mov_b32_e32 v6, 0
.LBB27_247:                             ; =>This Inner Loop Header: Depth=1
	v_add_u32_e32 v11, v6, v8
	v_ashrrev_i32_e32 v11, 1, v11
	v_lshl_add_u32 v12, v11, 2, v7
	ds_read_b32 v12, v12
	v_add_u32_e32 v13, 1, v11
	s_waitcnt lgkmcnt(0)
	v_cmp_gt_i32_e32 vcc, v12, v5
	v_cndmask_b32_e32 v6, v13, v6, vcc
	v_cndmask_b32_e32 v8, v8, v11, vcc
	v_cmp_ge_i32_e32 vcc, v6, v8
	s_or_b64 s[4:5], vcc, s[4:5]
	s_andn2_b64 exec, exec, s[4:5]
	s_cbranch_execnz .LBB27_247
; %bb.248:
	s_or_b64 exec, exec, s[4:5]
.LBB27_249:
	s_or_b64 exec, exec, s[0:1]
	s_waitcnt lgkmcnt(0)
	v_add_u32_e32 v5, v6, v10
	v_min_i32_e32 v6, v5, v0
	v_sub_u32_e32 v7, v9, v6
	v_add_u32_e32 v6, 1, v6
	v_cmp_eq_u32_e32 vcc, v7, v6
	v_cmp_lt_i32_e64 s[0:1], v0, v5
	s_and_b64 s[0:1], s[0:1], vcc
	v_cndmask_b32_e64 v5, 0, 1, s[0:1]
	v_add_u32_e32 v0, v7, v4
.LBB27_250:
	s_or_b64 exec, exec, s[2:3]
	v_add_u32_e32 v1, v5, v1
	v_sub_u32_e32 v5, v1, v0
	v_lshlrev_b32_e32 v4, 16, v20
	v_or_b32_e32 v4, v4, v21
	v_lshl_or_b32 v6, v0, 16, v5
	v_cmp_eq_u32_e64 s[0:1], 0, v16
	v_cndmask_b32_e64 v4, v6, v4, s[0:1]
	v_add_u32_e32 v6, -1, v16
	v_mov_b32_e32 v7, 0xff
	v_cndmask_b32_e64 v6, v6, v7, s[0:1]
	v_lshlrev_b32_e32 v6, 2, v6
	ds_write_b32 v6, v4
	s_waitcnt lgkmcnt(0)
	s_barrier
	v_lshlrev_b32_e32 v6, 2, v0
	v_lshl_add_u32 v3, v5, 2, v3
	ds_read_b32 v4, v2
	ds_read_b32 v21, v6 offset:1024
	ds_read_b32 v23, v3 offset:1024
	s_waitcnt lgkmcnt(2)
	v_cmp_le_i32_sdwa s[6:7], v4, v5 src0_sel:WORD_0 src1_sel:DWORD
	v_cmp_le_i32_sdwa s[4:5], sext(v4), v0 src0_sel:WORD_1 src1_sel:DWORD
	s_waitcnt lgkmcnt(0)
	v_cmp_lt_i32_e32 vcc, v23, v21
	v_cndmask_b32_e64 v2, 0, 1, vcc
	v_cndmask_b32_e64 v3, 0, 1, s[4:5]
	s_or_b64 s[2:3], s[4:5], s[6:7]
	v_cndmask_b32_e64 v2, v2, v3, s[2:3]
	v_and_b32_e32 v2, 1, v2
	v_cmp_eq_u32_e32 vcc, 1, v2
	s_xor_b64 s[10:11], vcc, -1
	v_mov_b32_e32 v24, v21
	s_and_saveexec_b64 s[8:9], s[10:11]
	s_cbranch_execz .LBB27_252
; %bb.251:
	ds_read_b32 v24, v6 offset:1028
	v_add_u32_e32 v0, 1, v0
.LBB27_252:
	s_or_b64 exec, exec, s[8:9]
	s_xor_b64 s[8:9], s[4:5], -1
	v_cmp_lt_i32_e64 s[4:5], v21, v23
	v_cndmask_b32_e64 v3, 0, 1, s[4:5]
	s_and_b64 s[4:5], s[6:7], s[8:9]
	v_add_u32_e32 v2, v5, v20
	v_cndmask_b32_e64 v5, 0, 1, s[4:5]
	v_cndmask_b32_e64 v3, v3, v5, s[2:3]
	v_and_b32_e32 v3, 1, v3
	v_cmp_eq_u32_e64 s[2:3], 1, v3
	s_xor_b64 s[6:7], s[2:3], -1
	v_mov_b32_e32 v25, v23
	s_and_saveexec_b64 s[4:5], s[6:7]
	s_cbranch_execz .LBB27_254
; %bb.253:
	v_lshlrev_b32_e32 v3, 2, v2
	ds_read_b32 v25, v3 offset:1028
	v_add_u32_e32 v2, 1, v2
.LBB27_254:
	s_or_b64 exec, exec, s[4:5]
	v_add_u32_sdwa v7, v4, v20 dst_sel:DWORD dst_unused:UNUSED_PAD src0_sel:WORD_0 src1_sel:DWORD
	v_cmp_ge_i32_e64 s[4:5], v2, v7
	v_cmp_ge_i32_sdwa s[8:9], v0, sext(v4) src0_sel:DWORD src1_sel:WORD_1
	s_waitcnt lgkmcnt(0)
	v_cmp_lt_i32_e64 s[6:7], v25, v24
	v_cndmask_b32_e64 v3, 0, 1, s[8:9]
	v_cndmask_b32_e64 v5, 0, 1, s[6:7]
	s_or_b64 s[6:7], s[8:9], s[4:5]
	v_cndmask_b32_e64 v3, v5, v3, s[6:7]
	v_and_b32_e32 v3, 1, v3
	v_cmp_eq_u32_e64 s[36:37], 1, v3
	s_xor_b64 s[10:11], s[36:37], -1
	v_mov_b32_e32 v26, v24
	v_mov_b32_e32 v3, v0
	s_and_saveexec_b64 s[6:7], s[10:11]
	s_cbranch_execz .LBB27_256
; %bb.255:
	v_lshlrev_b32_e32 v3, 2, v0
	ds_read_b32 v26, v3 offset:1028
	v_add_u32_e32 v3, 1, v0
.LBB27_256:
	s_or_b64 exec, exec, s[6:7]
	v_cmp_lt_i32_e64 s[6:7], v24, v25
	s_or_b64 s[4:5], s[4:5], s[6:7]
	s_xor_b64 s[6:7], s[8:9], -1
	s_and_b64 s[4:5], s[6:7], s[4:5]
	s_xor_b64 s[8:9], s[4:5], -1
	v_mov_b32_e32 v27, v25
	v_mov_b32_e32 v5, v2
	s_and_saveexec_b64 s[6:7], s[8:9]
	s_cbranch_execz .LBB27_258
; %bb.257:
	v_lshlrev_b32_e32 v5, 2, v2
	ds_read_b32 v27, v5 offset:1028
	v_add_u32_e32 v5, 1, v2
.LBB27_258:
	s_or_b64 exec, exec, s[6:7]
	v_cmp_ge_i32_e64 s[6:7], v5, v7
	v_cmp_ge_i32_sdwa s[10:11], v3, sext(v4) src0_sel:DWORD src1_sel:WORD_1
	s_waitcnt lgkmcnt(0)
	v_cmp_lt_i32_e64 s[8:9], v27, v26
	v_cndmask_b32_e64 v6, 0, 1, s[10:11]
	v_cndmask_b32_e64 v8, 0, 1, s[8:9]
	s_or_b64 s[8:9], s[10:11], s[6:7]
	v_cndmask_b32_e64 v6, v8, v6, s[8:9]
	v_and_b32_e32 v6, 1, v6
	v_cmp_eq_u32_e64 s[38:39], 1, v6
	s_xor_b64 s[12:13], s[38:39], -1
	v_mov_b32_e32 v28, v26
	v_mov_b32_e32 v6, v3
	s_and_saveexec_b64 s[8:9], s[12:13]
	s_cbranch_execz .LBB27_260
; %bb.259:
	v_lshlrev_b32_e32 v6, 2, v3
	ds_read_b32 v28, v6 offset:1028
	v_add_u32_e32 v6, 1, v3
.LBB27_260:
	s_or_b64 exec, exec, s[8:9]
	v_cmp_lt_i32_e64 s[8:9], v26, v27
	s_or_b64 s[6:7], s[6:7], s[8:9]
	s_xor_b64 s[8:9], s[10:11], -1
	s_and_b64 s[6:7], s[8:9], s[6:7]
	s_xor_b64 s[10:11], s[6:7], -1
	v_mov_b32_e32 v29, v27
	v_mov_b32_e32 v8, v5
	s_and_saveexec_b64 s[8:9], s[10:11]
	s_cbranch_execz .LBB27_262
; %bb.261:
	v_lshlrev_b32_e32 v8, 2, v5
	ds_read_b32 v29, v8 offset:1028
	v_add_u32_e32 v8, 1, v5
.LBB27_262:
	s_or_b64 exec, exec, s[8:9]
	;; [unrolled: 36-line block ×14, first 2 shown]
	v_cmp_ge_i32_e64 s[34:35], v68, v7
	v_cmp_ge_i32_sdwa s[76:77], v67, sext(v4) src0_sel:DWORD src1_sel:WORD_1
	s_waitcnt lgkmcnt(0)
	v_cmp_lt_i32_e64 s[66:67], v53, v52
	v_cndmask_b32_e64 v69, 0, 1, s[76:77]
	v_cndmask_b32_e64 v70, 0, 1, s[66:67]
	s_or_b64 s[66:67], s[76:77], s[34:35]
	v_cmp_lt_i32_e64 s[64:65], v52, v53
	v_cndmask_b32_e64 v69, v70, v69, s[66:67]
	v_cmp_lt_i32_sdwa s[70:71], v67, sext(v4) src0_sel:DWORD src1_sel:WORD_1
	v_and_b32_e32 v69, 1, v69
	s_or_b64 s[34:35], s[34:35], s[64:65]
	v_cmp_eq_u32_e64 s[66:67], 1, v69
	s_and_b64 s[34:35], s[70:71], s[34:35]
	v_add_u32_e32 v67, v68, v67
	v_add_u32_sdwa v4, v7, sext(v4) dst_sel:DWORD dst_unused:UNUSED_PAD src0_sel:DWORD src1_sel:WORD_1
	v_cmp_lt_i32_e64 s[64:65], v67, v4
	s_xor_b64 s[66:67], s[66:67], s[34:35]
	v_mov_b32_e32 v7, 0x8000
	s_and_b64 s[64:65], s[64:65], s[66:67]
	v_add_u32_e32 v65, v66, v65
	v_cndmask_b32_e64 v7, 0, v7, s[64:65]
	v_cmp_lt_i32_e64 s[64:65], v65, v4
	s_xor_b64 s[62:63], s[62:63], s[30:31]
	v_mov_b32_e32 v65, 0x4000
	s_and_b64 s[62:63], s[64:65], s[62:63]
	v_add_u32_e32 v63, v64, v63
	v_cndmask_b32_e64 v65, 0, v65, s[62:63]
	;; [unrolled: 6-line block ×9, first 2 shown]
	v_cmp_lt_i32_e64 s[48:49], v13, v4
	s_xor_b64 s[46:47], s[46:47], s[14:15]
	s_and_b64 s[46:47], s[48:49], s[46:47]
	v_add_u32_e32 v11, v12, v11
	v_cndmask_b32_e64 v13, 0, 64, s[46:47]
	v_cmp_lt_i32_e64 s[46:47], v11, v4
	s_xor_b64 s[44:45], s[44:45], s[12:13]
	v_add_u32_e32 v9, v10, v9
	s_and_b64 s[46:47], s[46:47], s[44:45]
	v_cmp_lt_i32_e64 s[44:45], v9, v4
	s_xor_b64 s[42:43], s[42:43], s[10:11]
	v_add_u32_e32 v6, v8, v6
	s_and_b64 s[44:45], s[44:45], s[42:43]
	;; [unrolled: 4-line block ×5, first 2 shown]
	v_cmp_lt_i32_e64 s[36:37], v1, v4
	s_xor_b64 s[38:39], vcc, s[2:3]
	s_and_b64 s[52:53], s[36:37], s[38:39]
	v_cndmask_b32_e64 v3, 0, 4, s[48:49]
	v_cndmask_b32_e64 v0, 0, 2, s[50:51]
	;; [unrolled: 1-line block ×5, first 2 shown]
	v_or3_b32 v0, v0, v1, v3
	v_cndmask_b32_e64 v11, 0, 32, s[46:47]
	v_or3_b32 v0, v0, v6, v9
	v_or3_b32 v58, v0, v11, v13
	v_or_b32_e32 v57, v15, v58
	v_or3_b32 v56, v19, v55, v57
	v_or3_b32 v55, v60, v59, v56
	;; [unrolled: 1-line block ×4, first 2 shown]
	v_bcnt_u32_b32 v8, v20, 0
	v_mov_b32_e32 v9, 0
	s_cmp_lg_u32 s74, 0
	v_mbcnt_lo_u32_b32 v59, -1, 0
	s_barrier
	s_cbranch_scc0 .LBB27_339
; %bb.311:
	v_mov_b32_dpp v1, v8 row_shr:1 row_mask:0xf bank_mask:0xf
	v_add_co_u32_e32 v1, vcc, v1, v8
	v_mbcnt_hi_u32_b32 v18, -1, v59
	v_mov_b32_dpp v2, v9 row_shr:1 row_mask:0xf bank_mask:0xf
	v_addc_co_u32_e64 v3, s[36:37], 0, 0, vcc
	v_add_co_u32_e32 v4, vcc, 0, v1
	v_and_b32_e32 v0, 15, v18
	v_addc_co_u32_e32 v2, vcc, v2, v3, vcc
	v_cmp_eq_u32_e32 vcc, 0, v0
	v_cndmask_b32_e32 v1, v1, v8, vcc
	v_cndmask_b32_e64 v2, v2, 0, vcc
	v_cndmask_b32_e32 v3, v4, v8, vcc
	v_mov_b32_dpp v4, v1 row_shr:2 row_mask:0xf bank_mask:0xf
	v_mov_b32_dpp v5, v2 row_shr:2 row_mask:0xf bank_mask:0xf
	v_add_co_u32_e32 v4, vcc, v4, v3
	v_addc_co_u32_e32 v5, vcc, v5, v2, vcc
	v_cmp_lt_u32_e32 vcc, 1, v0
	v_cndmask_b32_e32 v1, v1, v4, vcc
	v_cndmask_b32_e32 v2, v2, v5, vcc
	v_cndmask_b32_e32 v3, v3, v4, vcc
	v_mov_b32_dpp v4, v1 row_shr:4 row_mask:0xf bank_mask:0xf
	v_mov_b32_dpp v5, v2 row_shr:4 row_mask:0xf bank_mask:0xf
	v_add_co_u32_e32 v4, vcc, v4, v3
	v_addc_co_u32_e32 v5, vcc, v5, v2, vcc
	v_cmp_lt_u32_e32 vcc, 3, v0
	v_cndmask_b32_e32 v1, v1, v4, vcc
	v_cndmask_b32_e32 v2, v2, v5, vcc
	;; [unrolled: 8-line block ×3, first 2 shown]
	v_cndmask_b32_e32 v2, v4, v6, vcc
	v_mov_b32_dpp v1, v0 row_bcast:15 row_mask:0xf bank_mask:0xf
	v_mov_b32_dpp v5, v3 row_bcast:15 row_mask:0xf bank_mask:0xf
	v_add_co_u32_e32 v4, vcc, v1, v2
	v_and_b32_e32 v7, 16, v18
	v_addc_co_u32_e32 v6, vcc, v5, v3, vcc
	v_cmp_eq_u32_e32 vcc, 0, v7
	v_cndmask_b32_e32 v1, v6, v3, vcc
	v_cndmask_b32_e32 v0, v4, v0, vcc
	v_cmp_eq_u32_e64 s[36:37], 0, v18
	v_mov_b32_dpp v7, v1 row_bcast:31 row_mask:0xf bank_mask:0xf
	v_mov_b32_dpp v5, v0 row_bcast:31 row_mask:0xf bank_mask:0xf
	v_cmp_ne_u32_e64 s[38:39], 0, v18
	v_pk_mov_b32 v[0:1], v[8:9], v[8:9] op_sel:[0,1]
	s_and_saveexec_b64 s[40:41], s[38:39]
; %bb.312:
	v_cndmask_b32_e32 v1, v6, v3, vcc
	v_cndmask_b32_e32 v0, v4, v2, vcc
	v_cmp_lt_u32_e32 vcc, 31, v18
	v_cndmask_b32_e32 v3, 0, v5, vcc
	v_cndmask_b32_e32 v2, 0, v7, vcc
	v_add_co_u32_e32 v0, vcc, v3, v0
	v_addc_co_u32_e32 v1, vcc, v2, v1, vcc
; %bb.313:
	s_or_b64 exec, exec, s[40:41]
	v_and_b32_e32 v3, 0x3c0, v16
	v_min_u32_e32 v3, 0xc0, v3
	v_or_b32_e32 v3, 63, v3
	v_lshrrev_b32_e32 v2, 6, v16
	v_cmp_eq_u32_e32 vcc, v3, v16
	s_and_saveexec_b64 s[38:39], vcc
	s_cbranch_execz .LBB27_315
; %bb.314:
	v_lshlrev_b32_e32 v3, 3, v2
	ds_write_b64 v3, v[0:1]
.LBB27_315:
	s_or_b64 exec, exec, s[38:39]
	v_cmp_gt_u32_e32 vcc, 4, v16
	s_waitcnt lgkmcnt(0)
	s_barrier
	s_and_saveexec_b64 s[40:41], vcc
	s_cbranch_execz .LBB27_317
; %bb.316:
	v_lshlrev_b32_e32 v1, 3, v16
	ds_read_b64 v[4:5], v1
	v_and_b32_e32 v3, 3, v18
	v_cmp_ne_u32_e64 s[38:39], 1, v3
	s_waitcnt lgkmcnt(0)
	v_mov_b32_dpp v6, v4 row_shr:1 row_mask:0xf bank_mask:0xf
	v_add_co_u32_e32 v6, vcc, v4, v6
	v_addc_co_u32_e32 v10, vcc, 0, v5, vcc
	v_mov_b32_dpp v7, v5 row_shr:1 row_mask:0xf bank_mask:0xf
	v_add_co_u32_e32 v11, vcc, 0, v6
	v_addc_co_u32_e32 v7, vcc, v7, v10, vcc
	v_cmp_eq_u32_e32 vcc, 0, v3
	v_cndmask_b32_e32 v6, v6, v4, vcc
	v_cndmask_b32_e32 v10, v7, v5, vcc
	s_nop 0
	v_mov_b32_dpp v6, v6 row_shr:2 row_mask:0xf bank_mask:0xf
	v_mov_b32_dpp v10, v10 row_shr:2 row_mask:0xf bank_mask:0xf
	v_cndmask_b32_e64 v3, 0, v6, s[38:39]
	v_cndmask_b32_e64 v6, 0, v10, s[38:39]
	v_add_co_u32_e64 v3, s[38:39], v3, v11
	v_addc_co_u32_e64 v6, s[38:39], v6, v7, s[38:39]
	v_cndmask_b32_e32 v5, v6, v5, vcc
	v_cndmask_b32_e32 v4, v3, v4, vcc
	ds_write_b64 v1, v[4:5]
.LBB27_317:
	s_or_b64 exec, exec, s[40:41]
	v_cmp_gt_u32_e32 vcc, 64, v16
	v_cmp_lt_u32_e64 s[38:39], 63, v16
	s_waitcnt lgkmcnt(0)
	s_barrier
	s_waitcnt lgkmcnt(0)
                                        ; implicit-def: $vgpr10_vgpr11
	s_and_saveexec_b64 s[40:41], s[38:39]
	s_cbranch_execz .LBB27_319
; %bb.318:
	v_lshl_add_u32 v1, v2, 3, -8
	ds_read_b64 v[10:11], v1
	s_waitcnt lgkmcnt(0)
	v_add_co_u32_e64 v0, s[38:39], v10, v0
.LBB27_319:
	s_or_b64 exec, exec, s[40:41]
	v_add_u32_e32 v1, -1, v18
	v_and_b32_e32 v2, 64, v18
	v_cmp_lt_i32_e64 s[38:39], v1, v2
	v_cndmask_b32_e64 v1, v1, v18, s[38:39]
	v_lshlrev_b32_e32 v1, 2, v1
	ds_bpermute_b32 v11, v1, v0
	s_and_saveexec_b64 s[54:55], vcc
	s_cbranch_execz .LBB27_338
; %bb.320:
	v_mov_b32_e32 v3, 0
	ds_read_b64 v[0:1], v3 offset:24
	s_and_saveexec_b64 s[38:39], s[36:37]
	s_cbranch_execz .LBB27_322
; %bb.321:
	s_add_i32 s40, s74, 64
	s_mov_b32 s41, 0
	s_lshl_b64 s[40:41], s[40:41], 4
	s_add_u32 s40, s72, s40
	s_addc_u32 s41, s73, s41
	v_mov_b32_e32 v2, 1
	v_pk_mov_b32 v[4:5], s[40:41], s[40:41] op_sel:[0,1]
	s_waitcnt lgkmcnt(0)
	;;#ASMSTART
	global_store_dwordx4 v[4:5], v[0:3] off	
s_waitcnt vmcnt(0)
	;;#ASMEND
.LBB27_322:
	s_or_b64 exec, exec, s[38:39]
	v_xad_u32 v12, v18, -1, s74
	v_add_u32_e32 v2, 64, v12
	v_lshlrev_b64 v[4:5], 4, v[2:3]
	v_mov_b32_e32 v2, s73
	v_add_co_u32_e32 v14, vcc, s72, v4
	v_addc_co_u32_e32 v15, vcc, v2, v5, vcc
	;;#ASMSTART
	global_load_dwordx4 v[4:7], v[14:15] off glc	
s_waitcnt vmcnt(0)
	;;#ASMEND
	v_and_b32_e32 v2, 0xff, v5
	v_and_b32_e32 v7, 0xff00, v5
	;; [unrolled: 1-line block ×3, first 2 shown]
	v_or3_b32 v2, 0, v2, v7
	v_or3_b32 v4, v4, 0, 0
	v_and_b32_e32 v5, 0xff000000, v5
	v_or3_b32 v5, v2, v13, v5
	v_or3_b32 v4, v4, 0, 0
	v_cmp_eq_u16_sdwa s[40:41], v6, v3 src0_sel:BYTE_0 src1_sel:DWORD
	s_and_saveexec_b64 s[38:39], s[40:41]
	s_cbranch_execz .LBB27_326
; %bb.323:
	s_mov_b64 s[40:41], 0
	v_mov_b32_e32 v2, 0
.LBB27_324:                             ; =>This Inner Loop Header: Depth=1
	;;#ASMSTART
	global_load_dwordx4 v[4:7], v[14:15] off glc	
s_waitcnt vmcnt(0)
	;;#ASMEND
	v_cmp_ne_u16_sdwa s[56:57], v6, v2 src0_sel:BYTE_0 src1_sel:DWORD
	s_or_b64 s[40:41], s[56:57], s[40:41]
	s_andn2_b64 exec, exec, s[40:41]
	s_cbranch_execnz .LBB27_324
; %bb.325:
	s_or_b64 exec, exec, s[40:41]
.LBB27_326:
	s_or_b64 exec, exec, s[38:39]
	v_and_b32_e32 v61, 63, v18
	v_mov_b32_e32 v60, 2
	v_cmp_ne_u32_e32 vcc, 63, v61
	v_cmp_eq_u16_sdwa s[38:39], v6, v60 src0_sel:BYTE_0 src1_sel:DWORD
	v_lshlrev_b64 v[14:15], v18, -1
	v_addc_co_u32_e32 v7, vcc, 0, v18, vcc
	v_and_b32_e32 v2, s39, v15
	v_lshlrev_b32_e32 v62, 2, v7
	v_or_b32_e32 v2, 0x80000000, v2
	ds_bpermute_b32 v7, v62, v4
	v_and_b32_e32 v3, s38, v14
	v_ffbl_b32_e32 v2, v2
	v_add_u32_e32 v2, 32, v2
	v_ffbl_b32_e32 v3, v3
	v_min_u32_e32 v2, v3, v2
	ds_bpermute_b32 v3, v62, v5
	s_waitcnt lgkmcnt(1)
	v_add_co_u32_e32 v7, vcc, v4, v7
	v_addc_co_u32_e32 v19, vcc, 0, v5, vcc
	v_add_co_u32_e32 v64, vcc, 0, v7
	v_cmp_gt_u32_e64 s[38:39], 62, v61
	s_waitcnt lgkmcnt(0)
	v_addc_co_u32_e32 v3, vcc, v3, v19, vcc
	v_cndmask_b32_e64 v19, 0, 1, s[38:39]
	v_cmp_lt_u32_e32 vcc, v61, v2
	v_lshlrev_b32_e32 v19, 1, v19
	v_cndmask_b32_e32 v7, v4, v7, vcc
	v_add_lshl_u32 v63, v19, v18, 2
	v_cndmask_b32_e32 v3, v5, v3, vcc
	ds_bpermute_b32 v19, v63, v7
	ds_bpermute_b32 v65, v63, v3
	v_cndmask_b32_e32 v66, v4, v64, vcc
	v_add_u32_e32 v64, 2, v61
	v_cmp_gt_u32_e64 s[40:41], 60, v61
	s_waitcnt lgkmcnt(1)
	v_add_co_u32_e64 v19, s[38:39], v19, v66
	s_waitcnt lgkmcnt(0)
	v_addc_co_u32_e64 v65, s[38:39], v65, v3, s[38:39]
	v_cmp_gt_u32_e64 s[38:39], v64, v2
	v_cndmask_b32_e64 v3, v65, v3, s[38:39]
	v_cndmask_b32_e64 v65, 0, 1, s[40:41]
	v_lshlrev_b32_e32 v65, 2, v65
	v_cndmask_b32_e64 v7, v19, v7, s[38:39]
	v_add_lshl_u32 v65, v65, v18, 2
	ds_bpermute_b32 v67, v65, v7
	ds_bpermute_b32 v68, v65, v3
	v_cndmask_b32_e64 v19, v19, v66, s[38:39]
	v_add_u32_e32 v66, 4, v61
	v_cmp_gt_u32_e64 s[40:41], 56, v61
	s_waitcnt lgkmcnt(1)
	v_add_co_u32_e64 v69, s[38:39], v67, v19
	s_waitcnt lgkmcnt(0)
	v_addc_co_u32_e64 v67, s[38:39], v68, v3, s[38:39]
	v_cmp_gt_u32_e64 s[38:39], v66, v2
	v_cndmask_b32_e64 v3, v67, v3, s[38:39]
	v_cndmask_b32_e64 v67, 0, 1, s[40:41]
	v_lshlrev_b32_e32 v67, 3, v67
	v_cndmask_b32_e64 v7, v69, v7, s[38:39]
	v_add_lshl_u32 v67, v67, v18, 2
	ds_bpermute_b32 v70, v67, v7
	v_cndmask_b32_e64 v19, v69, v19, s[38:39]
	ds_bpermute_b32 v69, v67, v3
	v_add_u32_e32 v68, 8, v61
	v_cmp_gt_u32_e64 s[40:41], 48, v61
	s_waitcnt lgkmcnt(1)
	v_add_co_u32_e64 v70, s[38:39], v70, v19
	s_waitcnt lgkmcnt(0)
	v_addc_co_u32_e64 v69, s[38:39], v69, v3, s[38:39]
	v_cmp_gt_u32_e64 s[38:39], v68, v2
	v_cndmask_b32_e64 v3, v69, v3, s[38:39]
	v_cndmask_b32_e64 v69, 0, 1, s[40:41]
	v_lshlrev_b32_e32 v69, 4, v69
	v_cndmask_b32_e64 v7, v70, v7, s[38:39]
	v_add_lshl_u32 v69, v69, v18, 2
	ds_bpermute_b32 v71, v69, v7
	ds_bpermute_b32 v72, v69, v3
	v_cndmask_b32_e64 v19, v70, v19, s[38:39]
	v_cmp_gt_u32_e64 s[40:41], 32, v61
	v_add_u32_e32 v70, 16, v61
	s_waitcnt lgkmcnt(1)
	v_add_co_u32_e64 v73, s[38:39], v71, v19
	s_waitcnt lgkmcnt(0)
	v_addc_co_u32_e64 v72, s[38:39], v72, v3, s[38:39]
	v_cndmask_b32_e64 v71, 0, 1, s[40:41]
	v_cmp_gt_u32_e64 s[38:39], v70, v2
	v_lshlrev_b32_e32 v71, 5, v71
	v_cndmask_b32_e64 v7, v73, v7, s[38:39]
	v_add_lshl_u32 v71, v71, v18, 2
	v_cndmask_b32_e64 v3, v72, v3, s[38:39]
	ds_bpermute_b32 v7, v71, v7
	ds_bpermute_b32 v18, v71, v3
	v_add_u32_e32 v72, 32, v61
	v_cndmask_b32_e64 v19, v73, v19, s[38:39]
	v_cmp_le_u32_e64 s[38:39], v72, v2
	s_waitcnt lgkmcnt(1)
	v_cndmask_b32_e64 v7, 0, v7, s[38:39]
	s_waitcnt lgkmcnt(0)
	v_cndmask_b32_e64 v2, 0, v18, s[38:39]
	v_add_co_u32_e64 v7, s[38:39], v7, v19
	v_addc_co_u32_e64 v2, s[38:39], v2, v3, s[38:39]
	v_mov_b32_e32 v13, 0
	v_cndmask_b32_e32 v5, v5, v2, vcc
	v_cndmask_b32_e32 v4, v4, v7, vcc
	s_branch .LBB27_328
.LBB27_327:                             ;   in Loop: Header=BB27_328 Depth=1
	s_or_b64 exec, exec, s[38:39]
	v_cmp_eq_u16_sdwa s[38:39], v6, v60 src0_sel:BYTE_0 src1_sel:DWORD
	v_and_b32_e32 v7, s39, v15
	v_or_b32_e32 v7, 0x80000000, v7
	ds_bpermute_b32 v19, v62, v4
	v_and_b32_e32 v18, s38, v14
	v_ffbl_b32_e32 v7, v7
	v_add_u32_e32 v7, 32, v7
	v_ffbl_b32_e32 v18, v18
	v_min_u32_e32 v7, v18, v7
	ds_bpermute_b32 v18, v62, v5
	s_waitcnt lgkmcnt(1)
	v_add_co_u32_e32 v19, vcc, v4, v19
	v_addc_co_u32_e32 v73, vcc, 0, v5, vcc
	v_add_co_u32_e32 v74, vcc, 0, v19
	s_waitcnt lgkmcnt(0)
	v_addc_co_u32_e32 v18, vcc, v18, v73, vcc
	v_cmp_lt_u32_e32 vcc, v61, v7
	v_cndmask_b32_e32 v19, v4, v19, vcc
	ds_bpermute_b32 v73, v63, v19
	v_cndmask_b32_e32 v18, v5, v18, vcc
	ds_bpermute_b32 v75, v63, v18
	v_cndmask_b32_e32 v74, v4, v74, vcc
	v_subrev_u32_e32 v12, 64, v12
	s_waitcnt lgkmcnt(1)
	v_add_co_u32_e64 v73, s[38:39], v73, v74
	s_waitcnt lgkmcnt(0)
	v_addc_co_u32_e64 v75, s[38:39], v75, v18, s[38:39]
	v_cmp_gt_u32_e64 s[38:39], v64, v7
	v_cndmask_b32_e64 v19, v73, v19, s[38:39]
	ds_bpermute_b32 v76, v65, v19
	v_cndmask_b32_e64 v18, v75, v18, s[38:39]
	ds_bpermute_b32 v75, v65, v18
	v_cndmask_b32_e64 v73, v73, v74, s[38:39]
	s_waitcnt lgkmcnt(1)
	v_add_co_u32_e64 v74, s[38:39], v76, v73
	s_waitcnt lgkmcnt(0)
	v_addc_co_u32_e64 v75, s[38:39], v75, v18, s[38:39]
	v_cmp_gt_u32_e64 s[38:39], v66, v7
	v_cndmask_b32_e64 v19, v74, v19, s[38:39]
	ds_bpermute_b32 v76, v67, v19
	v_cndmask_b32_e64 v18, v75, v18, s[38:39]
	ds_bpermute_b32 v75, v67, v18
	v_cndmask_b32_e64 v73, v74, v73, s[38:39]
	s_waitcnt lgkmcnt(1)
	v_add_co_u32_e64 v74, s[38:39], v76, v73
	s_waitcnt lgkmcnt(0)
	v_addc_co_u32_e64 v75, s[38:39], v75, v18, s[38:39]
	v_cmp_gt_u32_e64 s[38:39], v68, v7
	v_cndmask_b32_e64 v19, v74, v19, s[38:39]
	ds_bpermute_b32 v76, v69, v19
	v_cndmask_b32_e64 v18, v75, v18, s[38:39]
	ds_bpermute_b32 v75, v69, v18
	v_cndmask_b32_e64 v73, v74, v73, s[38:39]
	s_waitcnt lgkmcnt(1)
	v_add_co_u32_e64 v74, s[38:39], v76, v73
	s_waitcnt lgkmcnt(0)
	v_addc_co_u32_e64 v75, s[38:39], v75, v18, s[38:39]
	v_cmp_gt_u32_e64 s[38:39], v70, v7
	v_cndmask_b32_e64 v19, v74, v19, s[38:39]
	v_cndmask_b32_e64 v18, v75, v18, s[38:39]
	ds_bpermute_b32 v19, v71, v19
	ds_bpermute_b32 v75, v71, v18
	v_cndmask_b32_e64 v73, v74, v73, s[38:39]
	v_cmp_le_u32_e64 s[38:39], v72, v7
	s_waitcnt lgkmcnt(1)
	v_cndmask_b32_e64 v19, 0, v19, s[38:39]
	s_waitcnt lgkmcnt(0)
	v_cndmask_b32_e64 v7, 0, v75, s[38:39]
	v_add_co_u32_e64 v19, s[38:39], v19, v73
	v_addc_co_u32_e64 v7, s[38:39], v7, v18, s[38:39]
	v_cndmask_b32_e32 v4, v4, v19, vcc
	v_cndmask_b32_e32 v5, v5, v7, vcc
	v_add_co_u32_e32 v4, vcc, v4, v2
	v_addc_co_u32_e32 v5, vcc, v5, v3, vcc
.LBB27_328:                             ; =>This Loop Header: Depth=1
                                        ;     Child Loop BB27_331 Depth 2
	v_cmp_ne_u16_sdwa s[38:39], v6, v60 src0_sel:BYTE_0 src1_sel:DWORD
	v_cndmask_b32_e64 v2, 0, 1, s[38:39]
	;;#ASMSTART
	;;#ASMEND
	v_cmp_ne_u32_e32 vcc, 0, v2
	s_cmp_lg_u64 vcc, exec
	v_pk_mov_b32 v[2:3], v[4:5], v[4:5] op_sel:[0,1]
	s_cbranch_scc1 .LBB27_333
; %bb.329:                              ;   in Loop: Header=BB27_328 Depth=1
	v_lshlrev_b64 v[4:5], 4, v[12:13]
	v_mov_b32_e32 v6, s73
	v_add_co_u32_e32 v18, vcc, s72, v4
	v_addc_co_u32_e32 v19, vcc, v6, v5, vcc
	;;#ASMSTART
	global_load_dwordx4 v[4:7], v[18:19] off glc	
s_waitcnt vmcnt(0)
	;;#ASMEND
	v_and_b32_e32 v7, 0xff, v5
	v_and_b32_e32 v73, 0xff00, v5
	;; [unrolled: 1-line block ×3, first 2 shown]
	v_or3_b32 v7, 0, v7, v73
	v_or3_b32 v4, v4, 0, 0
	v_and_b32_e32 v5, 0xff000000, v5
	v_or3_b32 v5, v7, v74, v5
	v_or3_b32 v4, v4, 0, 0
	v_cmp_eq_u16_sdwa s[40:41], v6, v13 src0_sel:BYTE_0 src1_sel:DWORD
	s_and_saveexec_b64 s[38:39], s[40:41]
	s_cbranch_execz .LBB27_327
; %bb.330:                              ;   in Loop: Header=BB27_328 Depth=1
	s_mov_b64 s[40:41], 0
.LBB27_331:                             ;   Parent Loop BB27_328 Depth=1
                                        ; =>  This Inner Loop Header: Depth=2
	;;#ASMSTART
	global_load_dwordx4 v[4:7], v[18:19] off glc	
s_waitcnt vmcnt(0)
	;;#ASMEND
	v_cmp_ne_u16_sdwa s[56:57], v6, v13 src0_sel:BYTE_0 src1_sel:DWORD
	s_or_b64 s[40:41], s[56:57], s[40:41]
	s_andn2_b64 exec, exec, s[40:41]
	s_cbranch_execnz .LBB27_331
; %bb.332:                              ;   in Loop: Header=BB27_328 Depth=1
	s_or_b64 exec, exec, s[40:41]
	s_branch .LBB27_327
.LBB27_333:                             ;   in Loop: Header=BB27_328 Depth=1
                                        ; implicit-def: $vgpr4_vgpr5
                                        ; implicit-def: $vgpr6
	s_cbranch_execz .LBB27_328
; %bb.334:
	s_and_saveexec_b64 s[38:39], s[36:37]
	s_cbranch_execz .LBB27_336
; %bb.335:
	s_add_i32 s40, s74, 64
	s_mov_b32 s41, 0
	s_lshl_b64 s[40:41], s[40:41], 4
	s_add_u32 s40, s72, s40
	v_add_co_u32_e32 v4, vcc, v2, v0
	s_addc_u32 s41, s73, s41
	v_addc_co_u32_e32 v5, vcc, v3, v1, vcc
	v_mov_b32_e32 v6, 2
	v_mov_b32_e32 v7, 0
	v_pk_mov_b32 v[12:13], s[40:41], s[40:41] op_sel:[0,1]
	;;#ASMSTART
	global_store_dwordx4 v[12:13], v[4:7] off	
s_waitcnt vmcnt(0)
	;;#ASMEND
	ds_write_b128 v7, v[0:3] offset:32
.LBB27_336:
	s_or_b64 exec, exec, s[38:39]
	s_and_b64 exec, exec, s[0:1]
	s_cbranch_execz .LBB27_338
; %bb.337:
	v_mov_b32_e32 v0, 0
	ds_write_b64 v0, v[2:3] offset:24
.LBB27_338:
	s_or_b64 exec, exec, s[54:55]
	v_mov_b32_e32 v0, 0
	s_waitcnt lgkmcnt(0)
	s_barrier
	ds_read_b64 v[4:5], v0 offset:24
	s_waitcnt lgkmcnt(0)
	s_barrier
	ds_read_b128 v[0:3], v0 offset:32
	v_cndmask_b32_e64 v6, v11, v10, s[36:37]
	s_waitcnt lgkmcnt(0)
	v_cndmask_b32_e64 v1, v6, 0, s[0:1]
	v_add_co_u32_e32 v4, vcc, v4, v1
	s_branch .LBB27_351
.LBB27_339:
                                        ; implicit-def: $vgpr2_vgpr3
                                        ; implicit-def: $vgpr4_vgpr5
	s_cbranch_execz .LBB27_351
; %bb.340:
	s_nop 0
	v_mov_b32_dpp v2, v8 row_shr:1 row_mask:0xf bank_mask:0xf
	v_mov_b32_e32 v0, 0
	v_add_co_u32_e32 v2, vcc, v2, v8
	v_mbcnt_hi_u32_b32 v4, -1, v59
	v_mov_b32_dpp v0, v0 row_shr:1 row_mask:0xf bank_mask:0xf
	v_addc_co_u32_e64 v3, s[36:37], 0, 0, vcc
	v_add_co_u32_e32 v5, vcc, 0, v2
	v_and_b32_e32 v1, 15, v4
	v_addc_co_u32_e32 v0, vcc, v0, v3, vcc
	v_cmp_eq_u32_e32 vcc, 0, v1
	v_cndmask_b32_e32 v2, v2, v8, vcc
	v_cndmask_b32_e64 v0, v0, 0, vcc
	v_cndmask_b32_e32 v3, v5, v8, vcc
	v_mov_b32_dpp v5, v2 row_shr:2 row_mask:0xf bank_mask:0xf
	v_mov_b32_dpp v6, v0 row_shr:2 row_mask:0xf bank_mask:0xf
	v_add_co_u32_e32 v5, vcc, v5, v3
	v_addc_co_u32_e32 v6, vcc, v6, v0, vcc
	v_cmp_lt_u32_e32 vcc, 1, v1
	v_cndmask_b32_e32 v2, v2, v5, vcc
	v_cndmask_b32_e32 v0, v0, v6, vcc
	v_cndmask_b32_e32 v3, v3, v5, vcc
	v_mov_b32_dpp v5, v2 row_shr:4 row_mask:0xf bank_mask:0xf
	v_mov_b32_dpp v6, v0 row_shr:4 row_mask:0xf bank_mask:0xf
	v_add_co_u32_e32 v5, vcc, v5, v3
	v_addc_co_u32_e32 v6, vcc, v6, v0, vcc
	v_cmp_lt_u32_e32 vcc, 3, v1
	v_cndmask_b32_e32 v2, v2, v5, vcc
	v_cndmask_b32_e32 v0, v0, v6, vcc
	;; [unrolled: 8-line block ×3, first 2 shown]
	v_cndmask_b32_e32 v0, v3, v5, vcc
	v_mov_b32_dpp v3, v1 row_bcast:15 row_mask:0xf bank_mask:0xf
	v_mov_b32_dpp v2, v6 row_bcast:15 row_mask:0xf bank_mask:0xf
	v_and_b32_e32 v7, 16, v4
	v_add_co_u32_e32 v2, vcc, v2, v0
	v_addc_co_u32_e32 v5, vcc, v3, v1, vcc
	v_cmp_eq_u32_e64 s[36:37], 0, v7
	v_cndmask_b32_e64 v7, v5, v1, s[36:37]
	v_cndmask_b32_e64 v3, v2, v6, s[36:37]
	v_cmp_eq_u32_e32 vcc, 0, v4
	v_mov_b32_dpp v6, v7 row_bcast:31 row_mask:0xf bank_mask:0xf
	v_mov_b32_dpp v3, v3 row_bcast:31 row_mask:0xf bank_mask:0xf
	v_cmp_ne_u32_e64 s[38:39], 0, v4
	s_and_saveexec_b64 s[40:41], s[38:39]
; %bb.341:
	v_cndmask_b32_e64 v1, v5, v1, s[36:37]
	v_cndmask_b32_e64 v0, v2, v0, s[36:37]
	v_cmp_lt_u32_e64 s[36:37], 31, v4
	v_cndmask_b32_e64 v3, 0, v3, s[36:37]
	v_cndmask_b32_e64 v2, 0, v6, s[36:37]
	v_add_co_u32_e64 v8, s[36:37], v3, v0
	v_addc_co_u32_e64 v9, s[36:37], v2, v1, s[36:37]
; %bb.342:
	s_or_b64 exec, exec, s[40:41]
	v_and_b32_e32 v1, 0x3c0, v16
	v_min_u32_e32 v1, 0xc0, v1
	v_or_b32_e32 v1, 63, v1
	v_lshrrev_b32_e32 v0, 6, v16
	v_cmp_eq_u32_e64 s[36:37], v1, v16
	s_and_saveexec_b64 s[38:39], s[36:37]
	s_cbranch_execz .LBB27_344
; %bb.343:
	v_lshlrev_b32_e32 v1, 3, v0
	ds_write_b64 v1, v[8:9]
.LBB27_344:
	s_or_b64 exec, exec, s[38:39]
	v_cmp_gt_u32_e64 s[36:37], 4, v16
	s_waitcnt lgkmcnt(0)
	s_barrier
	s_and_saveexec_b64 s[40:41], s[36:37]
	s_cbranch_execz .LBB27_346
; %bb.345:
	v_lshlrev_b32_e32 v1, 3, v16
	ds_read_b64 v[2:3], v1
	v_and_b32_e32 v5, 3, v4
	v_cmp_ne_u32_e64 s[38:39], 1, v5
	s_waitcnt lgkmcnt(0)
	v_mov_b32_dpp v6, v2 row_shr:1 row_mask:0xf bank_mask:0xf
	v_add_co_u32_e64 v6, s[36:37], v2, v6
	v_addc_co_u32_e64 v9, s[36:37], 0, v3, s[36:37]
	v_mov_b32_dpp v7, v3 row_shr:1 row_mask:0xf bank_mask:0xf
	v_add_co_u32_e64 v10, s[36:37], 0, v6
	v_addc_co_u32_e64 v7, s[36:37], v7, v9, s[36:37]
	v_cmp_eq_u32_e64 s[36:37], 0, v5
	v_cndmask_b32_e64 v6, v6, v2, s[36:37]
	v_cndmask_b32_e64 v9, v7, v3, s[36:37]
	s_nop 0
	v_mov_b32_dpp v6, v6 row_shr:2 row_mask:0xf bank_mask:0xf
	v_mov_b32_dpp v9, v9 row_shr:2 row_mask:0xf bank_mask:0xf
	v_cndmask_b32_e64 v5, 0, v6, s[38:39]
	v_cndmask_b32_e64 v6, 0, v9, s[38:39]
	v_add_co_u32_e64 v5, s[38:39], v5, v10
	v_addc_co_u32_e64 v6, s[38:39], v6, v7, s[38:39]
	v_cndmask_b32_e64 v3, v6, v3, s[36:37]
	v_cndmask_b32_e64 v2, v5, v2, s[36:37]
	ds_write_b64 v1, v[2:3]
.LBB27_346:
	s_or_b64 exec, exec, s[40:41]
	v_cmp_lt_u32_e64 s[36:37], 63, v16
	v_pk_mov_b32 v[2:3], 0, 0
	s_waitcnt lgkmcnt(0)
	s_barrier
	s_and_saveexec_b64 s[38:39], s[36:37]
	s_cbranch_execz .LBB27_348
; %bb.347:
	v_lshl_add_u32 v0, v0, 3, -8
	ds_read_b64 v[2:3], v0
.LBB27_348:
	s_or_b64 exec, exec, s[38:39]
	v_add_u32_e32 v1, -1, v4
	s_waitcnt lgkmcnt(0)
	v_and_b32_e32 v3, 64, v4
	v_cmp_lt_i32_e64 s[36:37], v1, v3
	v_cndmask_b32_e64 v1, v1, v4, s[36:37]
	v_add_u32_e32 v0, v2, v8
	v_lshlrev_b32_e32 v1, 2, v1
	ds_bpermute_b32 v4, v1, v0
	v_mov_b32_e32 v3, 0
	ds_read_b64 v[0:1], v3 offset:24
	s_waitcnt lgkmcnt(1)
	v_cndmask_b32_e32 v4, v4, v2, vcc
	s_and_saveexec_b64 s[36:37], s[0:1]
	s_cbranch_execz .LBB27_350
; %bb.349:
	s_add_u32 s0, s72, 0x400
	s_addc_u32 s1, s73, 0
	v_mov_b32_e32 v2, 2
	v_pk_mov_b32 v[6:7], s[0:1], s[0:1] op_sel:[0,1]
	s_waitcnt lgkmcnt(0)
	;;#ASMSTART
	global_store_dwordx4 v[6:7], v[0:3] off	
s_waitcnt vmcnt(0)
	;;#ASMEND
.LBB27_350:
	s_or_b64 exec, exec, s[36:37]
	v_pk_mov_b32 v[2:3], 0, 0
.LBB27_351:
	s_waitcnt lgkmcnt(0)
	v_sub_u32_e32 v1, v4, v2
	s_barrier
	s_and_saveexec_b64 s[0:1], s[52:53]
	s_cbranch_execnz .LBB27_389
; %bb.352:
	s_or_b64 exec, exec, s[0:1]
	s_and_saveexec_b64 s[0:1], s[50:51]
	s_cbranch_execnz .LBB27_390
.LBB27_353:
	s_or_b64 exec, exec, s[0:1]
	s_and_saveexec_b64 s[0:1], s[48:49]
	s_cbranch_execnz .LBB27_391
.LBB27_354:
	s_or_b64 exec, exec, s[0:1]
	s_and_saveexec_b64 s[0:1], s[42:43]
	s_cbranch_execnz .LBB27_392
.LBB27_355:
	s_or_b64 exec, exec, s[0:1]
	s_and_saveexec_b64 s[0:1], s[44:45]
	s_cbranch_execnz .LBB27_393
.LBB27_356:
	s_or_b64 exec, exec, s[0:1]
	s_and_saveexec_b64 s[0:1], s[46:47]
	s_cbranch_execz .LBB27_358
.LBB27_357:
	v_cndmask_b32_e64 v4, v33, v32, s[12:13]
	v_lshlrev_b32_e32 v5, 2, v1
	v_add_u32_e32 v1, 1, v1
	ds_write_b32 v5, v4 offset:1024
.LBB27_358:
	s_or_b64 exec, exec, s[0:1]
	v_and_b32_e32 v4, 64, v58
	v_cmp_ne_u32_e32 vcc, 0, v4
	s_and_saveexec_b64 s[0:1], vcc
	s_cbranch_execz .LBB27_360
; %bb.359:
	v_cndmask_b32_e64 v4, v35, v34, s[14:15]
	v_lshlrev_b32_e32 v5, 2, v1
	v_add_u32_e32 v1, 1, v1
	ds_write_b32 v5, v4 offset:1024
.LBB27_360:
	s_or_b64 exec, exec, s[0:1]
	v_and_b32_e32 v4, 0x80, v57
	v_cmp_ne_u32_e32 vcc, 0, v4
	s_and_saveexec_b64 s[0:1], vcc
	s_cbranch_execz .LBB27_362
; %bb.361:
	v_cndmask_b32_e64 v4, v37, v36, s[16:17]
	v_lshlrev_b32_e32 v5, 2, v1
	v_add_u32_e32 v1, 1, v1
	ds_write_b32 v5, v4 offset:1024
.LBB27_362:
	;; [unrolled: 11-line block ×9, first 2 shown]
	s_or_b64 exec, exec, s[0:1]
	v_and_b32_e32 v4, 0x8000, v20
	v_cmp_ne_u32_e32 vcc, 0, v4
	s_and_saveexec_b64 s[0:1], vcc
	s_cbranch_execz .LBB27_378
; %bb.377:
	v_cndmask_b32_e64 v4, v53, v52, s[34:35]
	v_lshlrev_b32_e32 v1, 2, v1
	ds_write_b32 v1, v4 offset:1024
.LBB27_378:
	s_or_b64 exec, exec, s[0:1]
	v_cmp_lt_i32_e32 vcc, v16, v0
	s_waitcnt lgkmcnt(0)
	s_barrier
	s_and_saveexec_b64 s[0:1], vcc
	s_cbranch_execz .LBB27_388
; %bb.379:
	v_xad_u32 v1, v16, -1, v0
	s_movk_i32 s0, 0xff
	v_cmp_lt_u32_e32 vcc, s0, v1
	s_mov_b64 s[0:1], -1
	v_lshlrev_b64 v[2:3], 2, v[2:3]
	s_and_saveexec_b64 s[2:3], vcc
	s_cbranch_execz .LBB27_385
; %bb.380:
	v_lshrrev_b32_e32 v1, 8, v1
	v_add_u32_e32 v8, 1, v1
	v_mov_b32_e32 v1, s69
	v_add_co_u32_e32 v9, vcc, s68, v2
	v_addc_co_u32_e32 v10, vcc, v1, v3, vcc
	v_and_b32_e32 v1, 0x1fffffe, v8
	v_add_u32_e32 v17, 0x100, v16
	s_mov_b64 s[4:5], 0
	v_mov_b32_e32 v5, 0
	v_mov_b32_e32 v11, v1
	v_pk_mov_b32 v[6:7], v[16:17], v[16:17] op_sel:[0,1]
.LBB27_381:                             ; =>This Inner Loop Header: Depth=1
	ds_read2st64_b32 v[12:13], v22 offset1:4
	v_mov_b32_e32 v4, v6
	v_add_u32_e32 v11, -2, v11
	v_lshlrev_b64 v[14:15], 2, v[4:5]
	v_mov_b32_e32 v4, v7
	v_cmp_eq_u32_e32 vcc, 0, v11
	v_add_co_u32_e64 v14, s[0:1], v9, v14
	v_lshlrev_b64 v[18:19], 2, v[4:5]
	v_add_u32_e32 v6, 0x200, v6
	v_add_u32_e32 v22, 0x800, v22
	;; [unrolled: 1-line block ×3, first 2 shown]
	v_addc_co_u32_e64 v15, s[0:1], v10, v15, s[0:1]
	s_or_b64 s[4:5], vcc, s[4:5]
	v_add_co_u32_e32 v18, vcc, v9, v18
	v_addc_co_u32_e32 v19, vcc, v10, v19, vcc
	s_waitcnt lgkmcnt(0)
	global_store_dword v[14:15], v12, off
	global_store_dword v[18:19], v13, off
	s_andn2_b64 exec, exec, s[4:5]
	s_cbranch_execnz .LBB27_381
; %bb.382:
	s_or_b64 exec, exec, s[4:5]
	v_cmp_ne_u32_e32 vcc, v8, v1
	s_mov_b64 s[0:1], 0
	s_and_saveexec_b64 s[4:5], vcc
; %bb.383:
	s_mov_b64 s[0:1], exec
	v_lshl_add_u32 v16, v1, 8, v16
	v_mov_b32_e32 v17, 0
; %bb.384:
	s_or_b64 exec, exec, s[4:5]
	s_orn2_b64 s[0:1], s[0:1], exec
.LBB27_385:
	s_or_b64 exec, exec, s[2:3]
	s_and_b64 exec, exec, s[0:1]
	s_cbranch_execz .LBB27_388
; %bb.386:
	v_mov_b32_e32 v6, s69
	v_add_co_u32_e32 v2, vcc, s68, v2
	v_lshlrev_b64 v[4:5], 2, v[16:17]
	v_addc_co_u32_e32 v3, vcc, v6, v3, vcc
	v_mov_b32_e32 v1, 0x400
	v_add_co_u32_e32 v2, vcc, v2, v4
	v_lshl_add_u32 v1, v16, 2, v1
	v_addc_co_u32_e32 v3, vcc, v3, v5, vcc
	s_mov_b64 s[0:1], 0
.LBB27_387:                             ; =>This Inner Loop Header: Depth=1
	ds_read_b32 v4, v1
	v_add_u32_e32 v16, 0x100, v16
	v_cmp_ge_i32_e32 vcc, v16, v0
	s_or_b64 s[0:1], vcc, s[0:1]
	v_add_u32_e32 v1, 0x400, v1
	s_waitcnt lgkmcnt(0)
	global_store_dword v[2:3], v4, off
	v_add_co_u32_e32 v2, vcc, 0x400, v2
	v_addc_co_u32_e32 v3, vcc, 0, v3, vcc
	s_andn2_b64 exec, exec, s[0:1]
	s_cbranch_execnz .LBB27_387
.LBB27_388:
	s_endpgm
.LBB27_389:
	v_cndmask_b32_e64 v4, v23, v21, s[2:3]
	v_lshlrev_b32_e32 v5, 2, v1
	v_add_u32_e32 v1, 1, v1
	ds_write_b32 v5, v4 offset:1024
	s_or_b64 exec, exec, s[0:1]
	s_and_saveexec_b64 s[0:1], s[50:51]
	s_cbranch_execz .LBB27_353
.LBB27_390:
	v_cndmask_b32_e64 v4, v25, v24, s[4:5]
	v_lshlrev_b32_e32 v5, 2, v1
	v_add_u32_e32 v1, 1, v1
	ds_write_b32 v5, v4 offset:1024
	s_or_b64 exec, exec, s[0:1]
	s_and_saveexec_b64 s[0:1], s[48:49]
	s_cbranch_execz .LBB27_354
.LBB27_391:
	v_cndmask_b32_e64 v4, v27, v26, s[6:7]
	v_lshlrev_b32_e32 v5, 2, v1
	v_add_u32_e32 v1, 1, v1
	ds_write_b32 v5, v4 offset:1024
	s_or_b64 exec, exec, s[0:1]
	s_and_saveexec_b64 s[0:1], s[42:43]
	s_cbranch_execz .LBB27_355
.LBB27_392:
	v_cndmask_b32_e64 v4, v29, v28, s[8:9]
	v_lshlrev_b32_e32 v5, 2, v1
	v_add_u32_e32 v1, 1, v1
	ds_write_b32 v5, v4 offset:1024
	s_or_b64 exec, exec, s[0:1]
	s_and_saveexec_b64 s[0:1], s[44:45]
	s_cbranch_execz .LBB27_356
.LBB27_393:
	v_cndmask_b32_e64 v4, v31, v30, s[10:11]
	v_lshlrev_b32_e32 v5, 2, v1
	v_add_u32_e32 v1, 1, v1
	ds_write_b32 v5, v4 offset:1024
	s_or_b64 exec, exec, s[0:1]
	s_and_saveexec_b64 s[0:1], s[46:47]
	s_cbranch_execnz .LBB27_357
	s_branch .LBB27_358
	.section	.rodata,"a",@progbits
	.p2align	6, 0x0
	.amdhsa_kernel _ZN6thrust23THRUST_200600_302600_NS11hip_rocprim16__set_operations22lookback_set_op_kernelIN7rocprim17ROCPRIM_400000_NS13kernel_configILj256ELj16ELj4294967295EEELb0ENS0_6detail15normal_iteratorINS0_10device_ptrIKiEEEESD_PiSE_lNS9_INSA_IiEEEESE_NS0_4lessIiEENS2_31serial_set_symmetric_differenceENS5_6detail19lookback_scan_stateIlLb0ELb1EEEEEvT1_T2_T3_T4_T6_T7_T8_T9_PNS0_4pairIT5_SW_EEPSW_T10_NSK_16ordered_block_idIjEE
		.amdhsa_group_segment_fixed_size 36868
		.amdhsa_private_segment_fixed_size 0
		.amdhsa_kernarg_size 344
		.amdhsa_user_sgpr_count 6
		.amdhsa_user_sgpr_private_segment_buffer 1
		.amdhsa_user_sgpr_dispatch_ptr 0
		.amdhsa_user_sgpr_queue_ptr 0
		.amdhsa_user_sgpr_kernarg_segment_ptr 1
		.amdhsa_user_sgpr_dispatch_id 0
		.amdhsa_user_sgpr_flat_scratch_init 0
		.amdhsa_user_sgpr_kernarg_preload_length 0
		.amdhsa_user_sgpr_kernarg_preload_offset 0
		.amdhsa_user_sgpr_private_segment_size 0
		.amdhsa_uses_dynamic_stack 0
		.amdhsa_system_sgpr_private_segment_wavefront_offset 0
		.amdhsa_system_sgpr_workgroup_id_x 1
		.amdhsa_system_sgpr_workgroup_id_y 0
		.amdhsa_system_sgpr_workgroup_id_z 0
		.amdhsa_system_sgpr_workgroup_info 0
		.amdhsa_system_vgpr_workitem_id 2
		.amdhsa_next_free_vgpr 81
		.amdhsa_next_free_sgpr 80
		.amdhsa_accum_offset 84
		.amdhsa_reserve_vcc 1
		.amdhsa_reserve_flat_scratch 0
		.amdhsa_float_round_mode_32 0
		.amdhsa_float_round_mode_16_64 0
		.amdhsa_float_denorm_mode_32 3
		.amdhsa_float_denorm_mode_16_64 3
		.amdhsa_dx10_clamp 1
		.amdhsa_ieee_mode 1
		.amdhsa_fp16_overflow 0
		.amdhsa_tg_split 0
		.amdhsa_exception_fp_ieee_invalid_op 0
		.amdhsa_exception_fp_denorm_src 0
		.amdhsa_exception_fp_ieee_div_zero 0
		.amdhsa_exception_fp_ieee_overflow 0
		.amdhsa_exception_fp_ieee_underflow 0
		.amdhsa_exception_fp_ieee_inexact 0
		.amdhsa_exception_int_div_zero 0
	.end_amdhsa_kernel
	.section	.text._ZN6thrust23THRUST_200600_302600_NS11hip_rocprim16__set_operations22lookback_set_op_kernelIN7rocprim17ROCPRIM_400000_NS13kernel_configILj256ELj16ELj4294967295EEELb0ENS0_6detail15normal_iteratorINS0_10device_ptrIKiEEEESD_PiSE_lNS9_INSA_IiEEEESE_NS0_4lessIiEENS2_31serial_set_symmetric_differenceENS5_6detail19lookback_scan_stateIlLb0ELb1EEEEEvT1_T2_T3_T4_T6_T7_T8_T9_PNS0_4pairIT5_SW_EEPSW_T10_NSK_16ordered_block_idIjEE,"axG",@progbits,_ZN6thrust23THRUST_200600_302600_NS11hip_rocprim16__set_operations22lookback_set_op_kernelIN7rocprim17ROCPRIM_400000_NS13kernel_configILj256ELj16ELj4294967295EEELb0ENS0_6detail15normal_iteratorINS0_10device_ptrIKiEEEESD_PiSE_lNS9_INSA_IiEEEESE_NS0_4lessIiEENS2_31serial_set_symmetric_differenceENS5_6detail19lookback_scan_stateIlLb0ELb1EEEEEvT1_T2_T3_T4_T6_T7_T8_T9_PNS0_4pairIT5_SW_EEPSW_T10_NSK_16ordered_block_idIjEE,comdat
.Lfunc_end27:
	.size	_ZN6thrust23THRUST_200600_302600_NS11hip_rocprim16__set_operations22lookback_set_op_kernelIN7rocprim17ROCPRIM_400000_NS13kernel_configILj256ELj16ELj4294967295EEELb0ENS0_6detail15normal_iteratorINS0_10device_ptrIKiEEEESD_PiSE_lNS9_INSA_IiEEEESE_NS0_4lessIiEENS2_31serial_set_symmetric_differenceENS5_6detail19lookback_scan_stateIlLb0ELb1EEEEEvT1_T2_T3_T4_T6_T7_T8_T9_PNS0_4pairIT5_SW_EEPSW_T10_NSK_16ordered_block_idIjEE, .Lfunc_end27-_ZN6thrust23THRUST_200600_302600_NS11hip_rocprim16__set_operations22lookback_set_op_kernelIN7rocprim17ROCPRIM_400000_NS13kernel_configILj256ELj16ELj4294967295EEELb0ENS0_6detail15normal_iteratorINS0_10device_ptrIKiEEEESD_PiSE_lNS9_INSA_IiEEEESE_NS0_4lessIiEENS2_31serial_set_symmetric_differenceENS5_6detail19lookback_scan_stateIlLb0ELb1EEEEEvT1_T2_T3_T4_T6_T7_T8_T9_PNS0_4pairIT5_SW_EEPSW_T10_NSK_16ordered_block_idIjEE
                                        ; -- End function
	.section	.AMDGPU.csdata,"",@progbits
; Kernel info:
; codeLenInByte = 20652
; NumSgprs: 84
; NumVgprs: 81
; NumAgprs: 0
; TotalNumVgprs: 81
; ScratchSize: 0
; MemoryBound: 0
; FloatMode: 240
; IeeeMode: 1
; LDSByteSize: 36868 bytes/workgroup (compile time only)
; SGPRBlocks: 10
; VGPRBlocks: 10
; NumSGPRsForWavesPerEU: 84
; NumVGPRsForWavesPerEU: 81
; AccumOffset: 84
; Occupancy: 1
; WaveLimiterHint : 1
; COMPUTE_PGM_RSRC2:SCRATCH_EN: 0
; COMPUTE_PGM_RSRC2:USER_SGPR: 6
; COMPUTE_PGM_RSRC2:TRAP_HANDLER: 0
; COMPUTE_PGM_RSRC2:TGID_X_EN: 1
; COMPUTE_PGM_RSRC2:TGID_Y_EN: 0
; COMPUTE_PGM_RSRC2:TGID_Z_EN: 0
; COMPUTE_PGM_RSRC2:TIDIG_COMP_CNT: 2
; COMPUTE_PGM_RSRC3_GFX90A:ACCUM_OFFSET: 20
; COMPUTE_PGM_RSRC3_GFX90A:TG_SPLIT: 0
	.section	.text._ZN6thrust23THRUST_200600_302600_NS11hip_rocprim14__parallel_for6kernelILj256EZNS1_16__set_operations9doit_stepILb0ENS0_6detail15normal_iteratorINS0_10device_ptrIKiEEEESB_PiSC_lNS0_16discard_iteratorINS0_11use_defaultEEESC_NS0_4lessIiEENS4_23serial_set_intersectionEEE10hipError_tPvRmT0_T1_T2_T3_T4_SQ_T5_T6_PSQ_T7_T8_P12ihipStream_tbEUllE_jLj1EEEvSM_SN_SN_,"axG",@progbits,_ZN6thrust23THRUST_200600_302600_NS11hip_rocprim14__parallel_for6kernelILj256EZNS1_16__set_operations9doit_stepILb0ENS0_6detail15normal_iteratorINS0_10device_ptrIKiEEEESB_PiSC_lNS0_16discard_iteratorINS0_11use_defaultEEESC_NS0_4lessIiEENS4_23serial_set_intersectionEEE10hipError_tPvRmT0_T1_T2_T3_T4_SQ_T5_T6_PSQ_T7_T8_P12ihipStream_tbEUllE_jLj1EEEvSM_SN_SN_,comdat
	.protected	_ZN6thrust23THRUST_200600_302600_NS11hip_rocprim14__parallel_for6kernelILj256EZNS1_16__set_operations9doit_stepILb0ENS0_6detail15normal_iteratorINS0_10device_ptrIKiEEEESB_PiSC_lNS0_16discard_iteratorINS0_11use_defaultEEESC_NS0_4lessIiEENS4_23serial_set_intersectionEEE10hipError_tPvRmT0_T1_T2_T3_T4_SQ_T5_T6_PSQ_T7_T8_P12ihipStream_tbEUllE_jLj1EEEvSM_SN_SN_ ; -- Begin function _ZN6thrust23THRUST_200600_302600_NS11hip_rocprim14__parallel_for6kernelILj256EZNS1_16__set_operations9doit_stepILb0ENS0_6detail15normal_iteratorINS0_10device_ptrIKiEEEESB_PiSC_lNS0_16discard_iteratorINS0_11use_defaultEEESC_NS0_4lessIiEENS4_23serial_set_intersectionEEE10hipError_tPvRmT0_T1_T2_T3_T4_SQ_T5_T6_PSQ_T7_T8_P12ihipStream_tbEUllE_jLj1EEEvSM_SN_SN_
	.globl	_ZN6thrust23THRUST_200600_302600_NS11hip_rocprim14__parallel_for6kernelILj256EZNS1_16__set_operations9doit_stepILb0ENS0_6detail15normal_iteratorINS0_10device_ptrIKiEEEESB_PiSC_lNS0_16discard_iteratorINS0_11use_defaultEEESC_NS0_4lessIiEENS4_23serial_set_intersectionEEE10hipError_tPvRmT0_T1_T2_T3_T4_SQ_T5_T6_PSQ_T7_T8_P12ihipStream_tbEUllE_jLj1EEEvSM_SN_SN_
	.p2align	8
	.type	_ZN6thrust23THRUST_200600_302600_NS11hip_rocprim14__parallel_for6kernelILj256EZNS1_16__set_operations9doit_stepILb0ENS0_6detail15normal_iteratorINS0_10device_ptrIKiEEEESB_PiSC_lNS0_16discard_iteratorINS0_11use_defaultEEESC_NS0_4lessIiEENS4_23serial_set_intersectionEEE10hipError_tPvRmT0_T1_T2_T3_T4_SQ_T5_T6_PSQ_T7_T8_P12ihipStream_tbEUllE_jLj1EEEvSM_SN_SN_,@function
_ZN6thrust23THRUST_200600_302600_NS11hip_rocprim14__parallel_for6kernelILj256EZNS1_16__set_operations9doit_stepILb0ENS0_6detail15normal_iteratorINS0_10device_ptrIKiEEEESB_PiSC_lNS0_16discard_iteratorINS0_11use_defaultEEESC_NS0_4lessIiEENS4_23serial_set_intersectionEEE10hipError_tPvRmT0_T1_T2_T3_T4_SQ_T5_T6_PSQ_T7_T8_P12ihipStream_tbEUllE_jLj1EEEvSM_SN_SN_: ; @_ZN6thrust23THRUST_200600_302600_NS11hip_rocprim14__parallel_for6kernelILj256EZNS1_16__set_operations9doit_stepILb0ENS0_6detail15normal_iteratorINS0_10device_ptrIKiEEEESB_PiSC_lNS0_16discard_iteratorINS0_11use_defaultEEESC_NS0_4lessIiEENS4_23serial_set_intersectionEEE10hipError_tPvRmT0_T1_T2_T3_T4_SQ_T5_T6_PSQ_T7_T8_P12ihipStream_tbEUllE_jLj1EEEvSM_SN_SN_
; %bb.0:
	s_load_dwordx2 s[0:1], s[4:5], 0x30
	s_load_dwordx2 s[2:3], s[4:5], 0x20
	s_load_dwordx8 s[8:15], s[4:5], 0x0
	s_lshl_b32 s20, s6, 8
	s_waitcnt lgkmcnt(0)
	s_add_i32 s20, s20, s1
	s_sub_i32 s0, s0, s20
	s_cmpk_lt_u32 s0, 0x100
	s_cbranch_scc0 .LBB28_12
; %bb.1:
	v_cmp_gt_u32_e32 vcc, s0, v0
	s_mov_b64 s[4:5], 0
	s_mov_b64 s[0:1], 0
                                        ; implicit-def: $vgpr4_vgpr5
                                        ; implicit-def: $vgpr6_vgpr7
	s_and_saveexec_b64 s[6:7], vcc
	s_cbranch_execz .LBB28_13
; %bb.2:
	v_add_u32_e32 v6, s20, v0
	s_movk_i32 s0, 0xfff
	v_mad_u64_u32 v[2:3], s[0:1], v6, s0, 0
	s_add_u32 s0, s10, s8
	s_addc_u32 s1, s11, s9
	v_mov_b32_e32 v1, s1
	v_cmp_lt_i64_e32 vcc, s[0:1], v[2:3]
	v_cndmask_b32_e32 v5, v3, v1, vcc
	v_mov_b32_e32 v1, s0
	v_cndmask_b32_e32 v4, v2, v1, vcc
	v_mov_b32_e32 v1, s11
	v_subrev_co_u32_e32 v2, vcc, s10, v4
	v_subb_co_u32_e32 v3, vcc, v5, v1, vcc
	v_cmp_lt_i64_e32 vcc, 0, v[2:3]
	v_cndmask_b32_e32 v3, 0, v3, vcc
	v_cndmask_b32_e32 v2, 0, v2, vcc
	v_mov_b32_e32 v1, s9
	v_cmp_lt_i64_e32 vcc, s[8:9], v[4:5]
	v_cndmask_b32_e32 v9, v5, v1, vcc
	v_mov_b32_e32 v1, s8
	v_cndmask_b32_e32 v8, v4, v1, vcc
	v_mov_b32_e32 v7, 0
	s_mov_b64 s[0:1], 0
	v_cmp_lt_i64_e32 vcc, v[2:3], v[8:9]
	s_and_saveexec_b64 s[16:17], vcc
	s_cbranch_execz .LBB28_6
; %bb.3:
	v_lshlrev_b64 v[10:11], 2, v[4:5]
	v_mov_b32_e32 v12, s3
	v_add_co_u32_e32 v1, vcc, s2, v10
	v_addc_co_u32_e32 v10, vcc, v12, v11, vcc
	v_mov_b32_e32 v11, s15
.LBB28_4:                               ; =>This Inner Loop Header: Depth=1
	v_add_co_u32_e32 v12, vcc, v8, v2
	v_addc_co_u32_e32 v13, vcc, v9, v3, vcc
	v_ashrrev_i64 v[12:13], 1, v[12:13]
	v_lshlrev_b64 v[14:15], 2, v[12:13]
	v_not_b32_e32 v17, v13
	v_not_b32_e32 v16, v12
	v_add_co_u32_e32 v14, vcc, s14, v14
	v_addc_co_u32_e32 v15, vcc, v11, v15, vcc
	v_lshlrev_b64 v[16:17], 2, v[16:17]
	global_load_dword v18, v[14:15], off
	v_add_co_u32_e32 v14, vcc, v1, v16
	v_addc_co_u32_e32 v15, vcc, v10, v17, vcc
	global_load_dword v14, v[14:15], off
	v_add_co_u32_e32 v15, vcc, 1, v12
	v_addc_co_u32_e32 v16, vcc, 0, v13, vcc
	s_waitcnt vmcnt(0)
	v_cmp_lt_i32_e32 vcc, v14, v18
	v_cndmask_b32_e32 v9, v9, v13, vcc
	v_cndmask_b32_e32 v8, v8, v12, vcc
	v_cndmask_b32_e32 v3, v16, v3, vcc
	v_cndmask_b32_e32 v2, v15, v2, vcc
	v_cmp_ge_i64_e32 vcc, v[2:3], v[8:9]
	s_or_b64 s[0:1], vcc, s[0:1]
	s_andn2_b64 exec, exec, s[0:1]
	s_cbranch_execnz .LBB28_4
; %bb.5:
	s_or_b64 exec, exec, s[0:1]
.LBB28_6:
	s_or_b64 exec, exec, s[16:17]
	v_sub_co_u32_e32 v12, vcc, v4, v2
	v_subb_co_u32_e32 v13, vcc, v5, v3, vcc
	v_cmp_gt_i64_e32 vcc, s[10:11], v[12:13]
	v_pk_mov_b32 v[10:11], 0, 0
	s_and_saveexec_b64 s[16:17], vcc
	s_cbranch_execz .LBB28_38
; %bb.7:
	v_lshlrev_b64 v[8:9], 2, v[12:13]
	v_mov_b32_e32 v1, s3
	v_add_co_u32_e32 v10, vcc, s2, v8
	v_addc_co_u32_e32 v11, vcc, v1, v9, vcc
	global_load_dword v1, v[10:11], off
	v_cmp_lt_i64_e32 vcc, 0, v[2:3]
	v_pk_mov_b32 v[8:9], 0, 0
	v_pk_mov_b32 v[14:15], v[2:3], v[2:3] op_sel:[0,1]
	s_and_saveexec_b64 s[0:1], vcc
	s_cbranch_execnz .LBB28_14
; %bb.8:
	s_or_b64 exec, exec, s[0:1]
	v_cmp_lt_i64_e32 vcc, v[8:9], v[14:15]
	s_and_saveexec_b64 s[0:1], vcc
	s_cbranch_execnz .LBB28_15
.LBB28_9:
	s_or_b64 exec, exec, s[0:1]
	v_cmp_lt_i64_e32 vcc, v[8:9], v[14:15]
	s_and_saveexec_b64 s[0:1], vcc
	s_cbranch_execnz .LBB28_16
.LBB28_10:
	s_or_b64 exec, exec, s[0:1]
	v_cmp_lt_i64_e32 vcc, v[8:9], v[14:15]
	s_and_saveexec_b64 s[0:1], vcc
	s_cbranch_execnz .LBB28_17
.LBB28_11:
	s_or_b64 exec, exec, s[0:1]
	v_cmp_lt_i64_e32 vcc, v[8:9], v[14:15]
	s_and_saveexec_b64 s[0:1], vcc
	s_cbranch_execnz .LBB28_18
	s_branch .LBB28_21
.LBB28_12:
	s_mov_b64 s[0:1], 0
                                        ; implicit-def: $vgpr4_vgpr5
                                        ; implicit-def: $vgpr6_vgpr7
	s_cbranch_execnz .LBB28_39
	s_branch .LBB28_74
.LBB28_13:
	s_or_b64 exec, exec, s[6:7]
	s_and_b64 vcc, exec, s[4:5]
	s_cbranch_vccnz .LBB28_39
	s_branch .LBB28_74
.LBB28_14:
	s_movk_i32 s21, 0x1ff
	v_mad_u64_u32 v[8:9], s[18:19], v2, s21, 0
	v_mov_b32_e32 v14, v9
	v_mad_u64_u32 v[14:15], s[18:19], v3, s21, v[14:15]
	v_mov_b32_e32 v9, v14
	v_lshrrev_b64 v[14:15], 9, v[8:9]
	v_lshlrev_b64 v[8:9], 2, v[14:15]
	v_mov_b32_e32 v16, s15
	v_add_co_u32_e32 v8, vcc, s14, v8
	v_addc_co_u32_e32 v9, vcc, v16, v9, vcc
	global_load_dword v8, v[8:9], off
	v_add_co_u32_e32 v16, vcc, 1, v14
	v_addc_co_u32_e32 v9, vcc, 0, v15, vcc
	s_waitcnt vmcnt(0)
	v_cmp_lt_i32_e32 vcc, v8, v1
	v_cndmask_b32_e32 v9, 0, v9, vcc
	v_cndmask_b32_e32 v8, 0, v16, vcc
	;; [unrolled: 1-line block ×4, first 2 shown]
	s_or_b64 exec, exec, s[0:1]
	v_cmp_lt_i64_e32 vcc, v[8:9], v[14:15]
	s_and_saveexec_b64 s[0:1], vcc
	s_cbranch_execz .LBB28_9
.LBB28_15:
	s_movk_i32 s21, 0x7f
	v_mad_u64_u32 v[16:17], s[18:19], v14, s21, v[8:9]
	v_mov_b32_e32 v18, v17
	v_mad_u64_u32 v[18:19], s[18:19], v15, s21, v[18:19]
	v_mov_b32_e32 v17, v18
	v_lshrrev_b64 v[16:17], 7, v[16:17]
	v_lshlrev_b64 v[18:19], 2, v[16:17]
	v_mov_b32_e32 v20, s15
	v_add_co_u32_e32 v18, vcc, s14, v18
	v_addc_co_u32_e32 v19, vcc, v20, v19, vcc
	global_load_dword v18, v[18:19], off
	v_add_co_u32_e32 v19, vcc, 1, v16
	v_addc_co_u32_e32 v20, vcc, 0, v17, vcc
	s_waitcnt vmcnt(0)
	v_cmp_lt_i32_e32 vcc, v18, v1
	v_cndmask_b32_e32 v9, v9, v20, vcc
	v_cndmask_b32_e32 v8, v8, v19, vcc
	;; [unrolled: 1-line block ×4, first 2 shown]
	s_or_b64 exec, exec, s[0:1]
	v_cmp_lt_i64_e32 vcc, v[8:9], v[14:15]
	s_and_saveexec_b64 s[0:1], vcc
	s_cbranch_execz .LBB28_10
.LBB28_16:
	v_mad_u64_u32 v[16:17], s[18:19], v14, 31, v[8:9]
	v_mov_b32_e32 v18, v17
	v_mad_u64_u32 v[18:19], s[18:19], v15, 31, v[18:19]
	v_mov_b32_e32 v17, v18
	v_lshrrev_b64 v[16:17], 5, v[16:17]
	v_lshlrev_b64 v[18:19], 2, v[16:17]
	v_mov_b32_e32 v20, s15
	v_add_co_u32_e32 v18, vcc, s14, v18
	v_addc_co_u32_e32 v19, vcc, v20, v19, vcc
	global_load_dword v18, v[18:19], off
	v_add_co_u32_e32 v19, vcc, 1, v16
	v_addc_co_u32_e32 v20, vcc, 0, v17, vcc
	s_waitcnt vmcnt(0)
	v_cmp_lt_i32_e32 vcc, v18, v1
	v_cndmask_b32_e32 v9, v9, v20, vcc
	v_cndmask_b32_e32 v8, v8, v19, vcc
	;; [unrolled: 1-line block ×4, first 2 shown]
	s_or_b64 exec, exec, s[0:1]
	v_cmp_lt_i64_e32 vcc, v[8:9], v[14:15]
	s_and_saveexec_b64 s[0:1], vcc
	s_cbranch_execz .LBB28_11
.LBB28_17:
	v_mad_u64_u32 v[16:17], s[18:19], v14, 15, v[8:9]
	v_mov_b32_e32 v18, v17
	v_mad_u64_u32 v[18:19], s[18:19], v15, 15, v[18:19]
	v_mov_b32_e32 v17, v18
	v_lshrrev_b64 v[16:17], 4, v[16:17]
	v_lshlrev_b64 v[18:19], 2, v[16:17]
	v_mov_b32_e32 v20, s15
	v_add_co_u32_e32 v18, vcc, s14, v18
	v_addc_co_u32_e32 v19, vcc, v20, v19, vcc
	global_load_dword v18, v[18:19], off
	v_add_co_u32_e32 v19, vcc, 1, v16
	v_addc_co_u32_e32 v20, vcc, 0, v17, vcc
	s_waitcnt vmcnt(0)
	v_cmp_lt_i32_e32 vcc, v18, v1
	v_cndmask_b32_e32 v9, v9, v20, vcc
	v_cndmask_b32_e32 v8, v8, v19, vcc
	;; [unrolled: 1-line block ×4, first 2 shown]
	s_or_b64 exec, exec, s[0:1]
	v_cmp_lt_i64_e32 vcc, v[8:9], v[14:15]
	s_and_saveexec_b64 s[0:1], vcc
	s_cbranch_execz .LBB28_21
.LBB28_18:
	s_mov_b64 s[18:19], 0
	v_mov_b32_e32 v16, s15
.LBB28_19:                              ; =>This Inner Loop Header: Depth=1
	v_add_co_u32_e32 v18, vcc, v8, v14
	v_addc_co_u32_e32 v19, vcc, v9, v15, vcc
	v_ashrrev_i64 v[18:19], 1, v[18:19]
	v_lshlrev_b64 v[20:21], 2, v[18:19]
	v_add_co_u32_e32 v20, vcc, s14, v20
	v_addc_co_u32_e32 v21, vcc, v16, v21, vcc
	global_load_dword v17, v[20:21], off
	v_add_co_u32_e32 v20, vcc, 1, v18
	v_addc_co_u32_e32 v21, vcc, 0, v19, vcc
	s_waitcnt vmcnt(0)
	v_cmp_lt_i32_e32 vcc, v17, v1
	v_cndmask_b32_e32 v9, v9, v21, vcc
	v_cndmask_b32_e32 v8, v8, v20, vcc
	;; [unrolled: 1-line block ×4, first 2 shown]
	v_cmp_ge_i64_e32 vcc, v[8:9], v[14:15]
	s_or_b64 s[18:19], vcc, s[18:19]
	s_andn2_b64 exec, exec, s[18:19]
	s_cbranch_execnz .LBB28_19
; %bb.20:
	s_or_b64 exec, exec, s[18:19]
.LBB28_21:
	s_or_b64 exec, exec, s[0:1]
	v_cmp_lt_i64_e32 vcc, 0, v[12:13]
	v_pk_mov_b32 v[14:15], 0, 0
	v_pk_mov_b32 v[16:17], v[12:13], v[12:13] op_sel:[0,1]
	s_and_saveexec_b64 s[0:1], vcc
	s_cbranch_execnz .LBB28_26
; %bb.22:
	s_or_b64 exec, exec, s[0:1]
	v_cmp_lt_i64_e32 vcc, v[14:15], v[16:17]
	s_and_saveexec_b64 s[0:1], vcc
	s_cbranch_execnz .LBB28_27
.LBB28_23:
	s_or_b64 exec, exec, s[0:1]
	v_cmp_lt_i64_e32 vcc, v[14:15], v[16:17]
	s_and_saveexec_b64 s[0:1], vcc
	s_cbranch_execnz .LBB28_28
.LBB28_24:
	s_or_b64 exec, exec, s[0:1]
	v_cmp_lt_i64_e32 vcc, v[14:15], v[16:17]
	s_and_saveexec_b64 s[0:1], vcc
	s_cbranch_execnz .LBB28_29
.LBB28_25:
	s_or_b64 exec, exec, s[0:1]
	v_cmp_lt_i64_e32 vcc, v[14:15], v[16:17]
	s_and_saveexec_b64 s[0:1], vcc
	s_cbranch_execnz .LBB28_30
	s_branch .LBB28_33
.LBB28_26:
	s_movk_i32 s21, 0x1ff
	v_mad_u64_u32 v[14:15], s[18:19], v12, s21, 0
	v_mov_b32_e32 v16, v15
	v_mad_u64_u32 v[16:17], s[18:19], v13, s21, v[16:17]
	v_mov_b32_e32 v15, v16
	v_lshrrev_b64 v[16:17], 9, v[14:15]
	v_lshlrev_b64 v[14:15], 2, v[16:17]
	v_mov_b32_e32 v18, s3
	v_add_co_u32_e32 v14, vcc, s2, v14
	v_addc_co_u32_e32 v15, vcc, v18, v15, vcc
	global_load_dword v14, v[14:15], off
	v_add_co_u32_e32 v18, vcc, 1, v16
	v_addc_co_u32_e32 v15, vcc, 0, v17, vcc
	s_waitcnt vmcnt(0)
	v_cmp_lt_i32_e32 vcc, v14, v1
	v_cndmask_b32_e32 v15, 0, v15, vcc
	v_cndmask_b32_e32 v14, 0, v18, vcc
	;; [unrolled: 1-line block ×4, first 2 shown]
	s_or_b64 exec, exec, s[0:1]
	v_cmp_lt_i64_e32 vcc, v[14:15], v[16:17]
	s_and_saveexec_b64 s[0:1], vcc
	s_cbranch_execz .LBB28_23
.LBB28_27:
	s_movk_i32 s21, 0x7f
	v_mad_u64_u32 v[18:19], s[18:19], v16, s21, v[14:15]
	v_mov_b32_e32 v20, v19
	v_mad_u64_u32 v[20:21], s[18:19], v17, s21, v[20:21]
	v_mov_b32_e32 v19, v20
	v_lshrrev_b64 v[18:19], 7, v[18:19]
	v_lshlrev_b64 v[20:21], 2, v[18:19]
	v_mov_b32_e32 v22, s3
	v_add_co_u32_e32 v20, vcc, s2, v20
	v_addc_co_u32_e32 v21, vcc, v22, v21, vcc
	global_load_dword v20, v[20:21], off
	v_add_co_u32_e32 v21, vcc, 1, v18
	v_addc_co_u32_e32 v22, vcc, 0, v19, vcc
	s_waitcnt vmcnt(0)
	v_cmp_lt_i32_e32 vcc, v20, v1
	v_cndmask_b32_e32 v15, v15, v22, vcc
	v_cndmask_b32_e32 v14, v14, v21, vcc
	v_cndmask_b32_e32 v17, v19, v17, vcc
	v_cndmask_b32_e32 v16, v18, v16, vcc
	s_or_b64 exec, exec, s[0:1]
	v_cmp_lt_i64_e32 vcc, v[14:15], v[16:17]
	s_and_saveexec_b64 s[0:1], vcc
	s_cbranch_execz .LBB28_24
.LBB28_28:
	v_mad_u64_u32 v[18:19], s[18:19], v16, 31, v[14:15]
	v_mov_b32_e32 v20, v19
	v_mad_u64_u32 v[20:21], s[18:19], v17, 31, v[20:21]
	v_mov_b32_e32 v19, v20
	v_lshrrev_b64 v[18:19], 5, v[18:19]
	v_lshlrev_b64 v[20:21], 2, v[18:19]
	v_mov_b32_e32 v22, s3
	v_add_co_u32_e32 v20, vcc, s2, v20
	v_addc_co_u32_e32 v21, vcc, v22, v21, vcc
	global_load_dword v20, v[20:21], off
	v_add_co_u32_e32 v21, vcc, 1, v18
	v_addc_co_u32_e32 v22, vcc, 0, v19, vcc
	s_waitcnt vmcnt(0)
	v_cmp_lt_i32_e32 vcc, v20, v1
	v_cndmask_b32_e32 v15, v15, v22, vcc
	v_cndmask_b32_e32 v14, v14, v21, vcc
	;; [unrolled: 1-line block ×4, first 2 shown]
	s_or_b64 exec, exec, s[0:1]
	v_cmp_lt_i64_e32 vcc, v[14:15], v[16:17]
	s_and_saveexec_b64 s[0:1], vcc
	s_cbranch_execz .LBB28_25
.LBB28_29:
	v_mad_u64_u32 v[18:19], s[18:19], v16, 15, v[14:15]
	v_mov_b32_e32 v20, v19
	v_mad_u64_u32 v[20:21], s[18:19], v17, 15, v[20:21]
	v_mov_b32_e32 v19, v20
	v_lshrrev_b64 v[18:19], 4, v[18:19]
	v_lshlrev_b64 v[20:21], 2, v[18:19]
	v_mov_b32_e32 v22, s3
	v_add_co_u32_e32 v20, vcc, s2, v20
	v_addc_co_u32_e32 v21, vcc, v22, v21, vcc
	global_load_dword v20, v[20:21], off
	v_add_co_u32_e32 v21, vcc, 1, v18
	v_addc_co_u32_e32 v22, vcc, 0, v19, vcc
	s_waitcnt vmcnt(0)
	v_cmp_lt_i32_e32 vcc, v20, v1
	v_cndmask_b32_e32 v15, v15, v22, vcc
	v_cndmask_b32_e32 v14, v14, v21, vcc
	v_cndmask_b32_e32 v17, v19, v17, vcc
	v_cndmask_b32_e32 v16, v18, v16, vcc
	s_or_b64 exec, exec, s[0:1]
	v_cmp_lt_i64_e32 vcc, v[14:15], v[16:17]
	s_and_saveexec_b64 s[0:1], vcc
	s_cbranch_execz .LBB28_33
.LBB28_30:
	s_mov_b64 s[18:19], 0
	v_mov_b32_e32 v18, s3
.LBB28_31:                              ; =>This Inner Loop Header: Depth=1
	v_add_co_u32_e32 v20, vcc, v14, v16
	v_addc_co_u32_e32 v21, vcc, v15, v17, vcc
	v_ashrrev_i64 v[20:21], 1, v[20:21]
	v_lshlrev_b64 v[22:23], 2, v[20:21]
	v_add_co_u32_e32 v22, vcc, s2, v22
	v_addc_co_u32_e32 v23, vcc, v18, v23, vcc
	global_load_dword v19, v[22:23], off
	v_add_co_u32_e32 v22, vcc, 1, v20
	v_addc_co_u32_e32 v23, vcc, 0, v21, vcc
	s_waitcnt vmcnt(0)
	v_cmp_lt_i32_e32 vcc, v19, v1
	v_cndmask_b32_e32 v15, v15, v23, vcc
	v_cndmask_b32_e32 v14, v14, v22, vcc
	;; [unrolled: 1-line block ×4, first 2 shown]
	v_cmp_ge_i64_e32 vcc, v[14:15], v[16:17]
	s_or_b64 s[18:19], vcc, s[18:19]
	s_andn2_b64 exec, exec, s[18:19]
	s_cbranch_execnz .LBB28_31
; %bb.32:
	s_or_b64 exec, exec, s[18:19]
.LBB28_33:
	s_or_b64 exec, exec, s[0:1]
	v_sub_co_u32_e32 v2, vcc, v2, v8
	v_subb_co_u32_e32 v3, vcc, v3, v9, vcc
	v_sub_co_u32_e32 v18, vcc, v12, v14
	v_subb_co_u32_e32 v19, vcc, v13, v15, vcc
	v_add_co_u32_e32 v16, vcc, v18, v2
	v_addc_co_u32_e32 v17, vcc, v19, v3, vcc
	v_ashrrev_i64 v[2:3], 1, v[16:17]
	v_cmp_gt_i64_e32 vcc, v[2:3], v[18:19]
	v_cndmask_b32_e32 v2, v18, v2, vcc
	v_cndmask_b32_e32 v3, v19, v3, vcc
	v_add_co_u32_e32 v14, vcc, v14, v2
	v_addc_co_u32_e32 v15, vcc, v15, v3, vcc
	v_add_co_u32_e32 v14, vcc, 1, v14
	v_addc_co_u32_e32 v15, vcc, 0, v15, vcc
	v_mov_b32_e32 v20, s11
	v_cmp_gt_i64_e32 vcc, s[10:11], v[14:15]
	v_cndmask_b32_e32 v15, v20, v15, vcc
	v_mov_b32_e32 v20, s10
	v_cndmask_b32_e32 v14, v20, v14, vcc
	v_sub_co_u32_e32 v14, vcc, v14, v12
	v_subb_co_u32_e32 v15, vcc, v15, v13, vcc
	s_mov_b64 s[18:19], 0
	v_cmp_lt_i64_e32 vcc, 0, v[14:15]
	v_pk_mov_b32 v[12:13], 0, 0
	s_and_saveexec_b64 s[0:1], vcc
	s_cbranch_execz .LBB28_37
; %bb.34:
	v_pk_mov_b32 v[12:13], 0, 0
.LBB28_35:                              ; =>This Inner Loop Header: Depth=1
	v_add_co_u32_e32 v20, vcc, v12, v14
	v_addc_co_u32_e32 v21, vcc, v13, v15, vcc
	v_ashrrev_i64 v[20:21], 1, v[20:21]
	v_lshlrev_b64 v[22:23], 2, v[20:21]
	v_add_co_u32_e32 v22, vcc, v10, v22
	v_addc_co_u32_e32 v23, vcc, v11, v23, vcc
	global_load_dword v22, v[22:23], off
	v_add_co_u32_e32 v23, vcc, 1, v20
	v_addc_co_u32_e32 v24, vcc, 0, v21, vcc
	s_waitcnt vmcnt(0)
	v_cmp_gt_i32_e32 vcc, v22, v1
	v_cndmask_b32_e32 v13, v24, v13, vcc
	v_cndmask_b32_e32 v12, v23, v12, vcc
	;; [unrolled: 1-line block ×4, first 2 shown]
	v_cmp_ge_i64_e32 vcc, v[12:13], v[14:15]
	s_or_b64 s[18:19], vcc, s[18:19]
	s_andn2_b64 exec, exec, s[18:19]
	s_cbranch_execnz .LBB28_35
; %bb.36:
	s_or_b64 exec, exec, s[18:19]
	v_ashrrev_i32_e32 v13, 31, v12
.LBB28_37:
	s_or_b64 exec, exec, s[0:1]
	v_add_co_u32_e32 v10, vcc, v12, v18
	v_addc_co_u32_e32 v11, vcc, v13, v19, vcc
	v_cmp_lt_i64_e32 vcc, v[10:11], v[2:3]
	v_cndmask_b32_e32 v14, v2, v10, vcc
	s_waitcnt vmcnt(0)
	v_cndmask_b32_e32 v1, v3, v11, vcc
	v_sub_co_u32_e32 v12, vcc, v16, v14
	v_subb_co_u32_e32 v13, vcc, v17, v1, vcc
	v_add_co_u32_e32 v14, vcc, 1, v14
	v_addc_co_u32_e32 v15, vcc, 0, v1, vcc
	v_cmp_eq_u64_e32 vcc, v[12:13], v[14:15]
	v_cmp_lt_i64_e64 s[0:1], v[2:3], v[10:11]
	s_and_b64 s[0:1], vcc, s[0:1]
	v_cndmask_b32_e64 v10, 0, 1, s[0:1]
	s_mov_b32 s0, 0
	v_add_co_u32_e32 v2, vcc, v12, v8
	v_mov_b32_e32 v11, s0
	v_addc_co_u32_e32 v3, vcc, v13, v9, vcc
.LBB28_38:
	s_or_b64 exec, exec, s[16:17]
	v_add_co_u32_e32 v1, vcc, v10, v4
	v_addc_co_u32_e32 v5, vcc, v11, v5, vcc
	v_sub_co_u32_e32 v4, vcc, v1, v2
	s_mov_b64 s[0:1], exec
	v_subb_co_u32_e32 v5, vcc, v5, v3, vcc
	s_or_b64 exec, exec, s[6:7]
	s_and_b64 vcc, exec, s[4:5]
	s_cbranch_vccz .LBB28_74
.LBB28_39:
	v_add_u32_e32 v6, s20, v0
	s_movk_i32 s0, 0xfff
	v_mad_u64_u32 v[0:1], s[0:1], v6, s0, 0
	s_add_u32 s0, s10, s8
	s_addc_u32 s1, s11, s9
	v_mov_b32_e32 v2, s1
	v_cmp_lt_i64_e32 vcc, s[0:1], v[0:1]
	v_cndmask_b32_e32 v1, v1, v2, vcc
	v_mov_b32_e32 v2, s0
	v_cndmask_b32_e32 v0, v0, v2, vcc
	v_mov_b32_e32 v3, s11
	v_subrev_co_u32_e32 v2, vcc, s10, v0
	v_subb_co_u32_e32 v3, vcc, v1, v3, vcc
	v_cmp_lt_i64_e32 vcc, 0, v[2:3]
	v_cndmask_b32_e32 v3, 0, v3, vcc
	v_cndmask_b32_e32 v2, 0, v2, vcc
	v_mov_b32_e32 v4, s9
	v_cmp_lt_i64_e32 vcc, s[8:9], v[0:1]
	v_cndmask_b32_e32 v5, v1, v4, vcc
	v_mov_b32_e32 v4, s8
	v_cndmask_b32_e32 v4, v0, v4, vcc
	v_mov_b32_e32 v7, 0
	s_mov_b64 s[0:1], 0
	v_cmp_lt_i64_e32 vcc, v[2:3], v[4:5]
	s_and_saveexec_b64 s[4:5], vcc
	s_cbranch_execz .LBB28_43
; %bb.40:
	v_lshlrev_b64 v[8:9], 2, v[0:1]
	v_mov_b32_e32 v10, s3
	v_add_co_u32_e32 v8, vcc, s2, v8
	v_addc_co_u32_e32 v9, vcc, v10, v9, vcc
	v_mov_b32_e32 v10, s15
.LBB28_41:                              ; =>This Inner Loop Header: Depth=1
	v_add_co_u32_e32 v12, vcc, v4, v2
	v_addc_co_u32_e32 v13, vcc, v5, v3, vcc
	v_ashrrev_i64 v[12:13], 1, v[12:13]
	v_lshlrev_b64 v[14:15], 2, v[12:13]
	v_not_b32_e32 v17, v13
	v_not_b32_e32 v16, v12
	v_add_co_u32_e32 v14, vcc, s14, v14
	v_addc_co_u32_e32 v15, vcc, v10, v15, vcc
	v_lshlrev_b64 v[16:17], 2, v[16:17]
	global_load_dword v11, v[14:15], off
	v_add_co_u32_e32 v14, vcc, v8, v16
	v_addc_co_u32_e32 v15, vcc, v9, v17, vcc
	global_load_dword v14, v[14:15], off
	v_add_co_u32_e32 v15, vcc, 1, v12
	v_addc_co_u32_e32 v16, vcc, 0, v13, vcc
	s_waitcnt vmcnt(0)
	v_cmp_lt_i32_e32 vcc, v14, v11
	v_cndmask_b32_e32 v5, v5, v13, vcc
	v_cndmask_b32_e32 v4, v4, v12, vcc
	;; [unrolled: 1-line block ×4, first 2 shown]
	v_cmp_ge_i64_e32 vcc, v[2:3], v[4:5]
	s_or_b64 s[0:1], vcc, s[0:1]
	s_andn2_b64 exec, exec, s[0:1]
	s_cbranch_execnz .LBB28_41
; %bb.42:
	s_or_b64 exec, exec, s[0:1]
.LBB28_43:
	s_or_b64 exec, exec, s[4:5]
	v_sub_co_u32_e32 v10, vcc, v0, v2
	v_subb_co_u32_e32 v11, vcc, v1, v3, vcc
	v_cmp_gt_i64_e32 vcc, s[10:11], v[10:11]
	v_pk_mov_b32 v[8:9], 0, 0
	s_and_saveexec_b64 s[4:5], vcc
	s_cbranch_execz .LBB28_73
; %bb.44:
	v_lshlrev_b64 v[4:5], 2, v[10:11]
	v_mov_b32_e32 v9, s3
	v_add_co_u32_e32 v8, vcc, s2, v4
	v_addc_co_u32_e32 v9, vcc, v9, v5, vcc
	global_load_dword v18, v[8:9], off
	v_cmp_lt_i64_e32 vcc, 0, v[2:3]
	v_pk_mov_b32 v[4:5], 0, 0
	v_pk_mov_b32 v[12:13], v[2:3], v[2:3] op_sel:[0,1]
	s_and_saveexec_b64 s[0:1], vcc
	s_cbranch_execnz .LBB28_49
; %bb.45:
	s_or_b64 exec, exec, s[0:1]
	v_cmp_lt_i64_e32 vcc, v[4:5], v[12:13]
	s_and_saveexec_b64 s[0:1], vcc
	s_cbranch_execnz .LBB28_50
.LBB28_46:
	s_or_b64 exec, exec, s[0:1]
	v_cmp_lt_i64_e32 vcc, v[4:5], v[12:13]
	s_and_saveexec_b64 s[0:1], vcc
	s_cbranch_execnz .LBB28_51
.LBB28_47:
	s_or_b64 exec, exec, s[0:1]
	v_cmp_lt_i64_e32 vcc, v[4:5], v[12:13]
	s_and_saveexec_b64 s[0:1], vcc
	s_cbranch_execnz .LBB28_52
.LBB28_48:
	s_or_b64 exec, exec, s[0:1]
	v_cmp_lt_i64_e32 vcc, v[4:5], v[12:13]
	s_and_saveexec_b64 s[0:1], vcc
	s_cbranch_execnz .LBB28_53
	s_branch .LBB28_56
.LBB28_49:
	s_movk_i32 s8, 0x1ff
	v_mad_u64_u32 v[4:5], s[6:7], v2, s8, 0
	v_mov_b32_e32 v12, v5
	v_mad_u64_u32 v[12:13], s[6:7], v3, s8, v[12:13]
	v_mov_b32_e32 v5, v12
	v_lshrrev_b64 v[12:13], 9, v[4:5]
	v_lshlrev_b64 v[4:5], 2, v[12:13]
	v_mov_b32_e32 v14, s15
	v_add_co_u32_e32 v4, vcc, s14, v4
	v_addc_co_u32_e32 v5, vcc, v14, v5, vcc
	global_load_dword v4, v[4:5], off
	v_add_co_u32_e32 v14, vcc, 1, v12
	v_addc_co_u32_e32 v5, vcc, 0, v13, vcc
	s_waitcnt vmcnt(0)
	v_cmp_lt_i32_e32 vcc, v4, v18
	v_cndmask_b32_e32 v5, 0, v5, vcc
	v_cndmask_b32_e32 v4, 0, v14, vcc
	;; [unrolled: 1-line block ×4, first 2 shown]
	s_or_b64 exec, exec, s[0:1]
	v_cmp_lt_i64_e32 vcc, v[4:5], v[12:13]
	s_and_saveexec_b64 s[0:1], vcc
	s_cbranch_execz .LBB28_46
.LBB28_50:
	s_movk_i32 s8, 0x7f
	v_mad_u64_u32 v[14:15], s[6:7], v12, s8, v[4:5]
	v_mov_b32_e32 v16, v15
	v_mad_u64_u32 v[16:17], s[6:7], v13, s8, v[16:17]
	v_mov_b32_e32 v15, v16
	v_lshrrev_b64 v[14:15], 7, v[14:15]
	v_lshlrev_b64 v[16:17], 2, v[14:15]
	v_mov_b32_e32 v19, s15
	v_add_co_u32_e32 v16, vcc, s14, v16
	v_addc_co_u32_e32 v17, vcc, v19, v17, vcc
	global_load_dword v16, v[16:17], off
	v_add_co_u32_e32 v17, vcc, 1, v14
	v_addc_co_u32_e32 v19, vcc, 0, v15, vcc
	s_waitcnt vmcnt(0)
	v_cmp_lt_i32_e32 vcc, v16, v18
	v_cndmask_b32_e32 v5, v5, v19, vcc
	v_cndmask_b32_e32 v4, v4, v17, vcc
	;; [unrolled: 1-line block ×4, first 2 shown]
	s_or_b64 exec, exec, s[0:1]
	v_cmp_lt_i64_e32 vcc, v[4:5], v[12:13]
	s_and_saveexec_b64 s[0:1], vcc
	s_cbranch_execz .LBB28_47
.LBB28_51:
	v_mad_u64_u32 v[14:15], s[6:7], v12, 31, v[4:5]
	v_mov_b32_e32 v16, v15
	v_mad_u64_u32 v[16:17], s[6:7], v13, 31, v[16:17]
	v_mov_b32_e32 v15, v16
	v_lshrrev_b64 v[14:15], 5, v[14:15]
	v_lshlrev_b64 v[16:17], 2, v[14:15]
	v_mov_b32_e32 v19, s15
	v_add_co_u32_e32 v16, vcc, s14, v16
	v_addc_co_u32_e32 v17, vcc, v19, v17, vcc
	global_load_dword v16, v[16:17], off
	v_add_co_u32_e32 v17, vcc, 1, v14
	v_addc_co_u32_e32 v19, vcc, 0, v15, vcc
	s_waitcnt vmcnt(0)
	v_cmp_lt_i32_e32 vcc, v16, v18
	v_cndmask_b32_e32 v5, v5, v19, vcc
	v_cndmask_b32_e32 v4, v4, v17, vcc
	;; [unrolled: 1-line block ×4, first 2 shown]
	s_or_b64 exec, exec, s[0:1]
	v_cmp_lt_i64_e32 vcc, v[4:5], v[12:13]
	s_and_saveexec_b64 s[0:1], vcc
	s_cbranch_execz .LBB28_48
.LBB28_52:
	v_mad_u64_u32 v[14:15], s[6:7], v12, 15, v[4:5]
	v_mov_b32_e32 v16, v15
	v_mad_u64_u32 v[16:17], s[6:7], v13, 15, v[16:17]
	v_mov_b32_e32 v15, v16
	v_lshrrev_b64 v[14:15], 4, v[14:15]
	v_lshlrev_b64 v[16:17], 2, v[14:15]
	v_mov_b32_e32 v19, s15
	v_add_co_u32_e32 v16, vcc, s14, v16
	v_addc_co_u32_e32 v17, vcc, v19, v17, vcc
	global_load_dword v16, v[16:17], off
	v_add_co_u32_e32 v17, vcc, 1, v14
	v_addc_co_u32_e32 v19, vcc, 0, v15, vcc
	s_waitcnt vmcnt(0)
	v_cmp_lt_i32_e32 vcc, v16, v18
	v_cndmask_b32_e32 v5, v5, v19, vcc
	v_cndmask_b32_e32 v4, v4, v17, vcc
	;; [unrolled: 1-line block ×4, first 2 shown]
	s_or_b64 exec, exec, s[0:1]
	v_cmp_lt_i64_e32 vcc, v[4:5], v[12:13]
	s_and_saveexec_b64 s[0:1], vcc
	s_cbranch_execz .LBB28_56
.LBB28_53:
	s_mov_b64 s[6:7], 0
	v_mov_b32_e32 v14, s15
.LBB28_54:                              ; =>This Inner Loop Header: Depth=1
	v_add_co_u32_e32 v16, vcc, v4, v12
	v_addc_co_u32_e32 v17, vcc, v5, v13, vcc
	v_ashrrev_i64 v[16:17], 1, v[16:17]
	v_lshlrev_b64 v[20:21], 2, v[16:17]
	v_add_co_u32_e32 v20, vcc, s14, v20
	v_addc_co_u32_e32 v21, vcc, v14, v21, vcc
	global_load_dword v15, v[20:21], off
	v_add_co_u32_e32 v19, vcc, 1, v16
	v_addc_co_u32_e32 v20, vcc, 0, v17, vcc
	s_waitcnt vmcnt(0)
	v_cmp_lt_i32_e32 vcc, v15, v18
	v_cndmask_b32_e32 v5, v5, v20, vcc
	v_cndmask_b32_e32 v4, v4, v19, vcc
	;; [unrolled: 1-line block ×4, first 2 shown]
	v_cmp_ge_i64_e32 vcc, v[4:5], v[12:13]
	s_or_b64 s[6:7], vcc, s[6:7]
	s_andn2_b64 exec, exec, s[6:7]
	s_cbranch_execnz .LBB28_54
; %bb.55:
	s_or_b64 exec, exec, s[6:7]
.LBB28_56:
	s_or_b64 exec, exec, s[0:1]
	v_cmp_lt_i64_e32 vcc, 0, v[10:11]
	v_pk_mov_b32 v[12:13], 0, 0
	v_pk_mov_b32 v[14:15], v[10:11], v[10:11] op_sel:[0,1]
	s_and_saveexec_b64 s[0:1], vcc
	s_cbranch_execnz .LBB28_61
; %bb.57:
	s_or_b64 exec, exec, s[0:1]
	v_cmp_lt_i64_e32 vcc, v[12:13], v[14:15]
	s_and_saveexec_b64 s[0:1], vcc
	s_cbranch_execnz .LBB28_62
.LBB28_58:
	s_or_b64 exec, exec, s[0:1]
	v_cmp_lt_i64_e32 vcc, v[12:13], v[14:15]
	s_and_saveexec_b64 s[0:1], vcc
	s_cbranch_execnz .LBB28_63
.LBB28_59:
	s_or_b64 exec, exec, s[0:1]
	v_cmp_lt_i64_e32 vcc, v[12:13], v[14:15]
	s_and_saveexec_b64 s[0:1], vcc
	s_cbranch_execnz .LBB28_64
.LBB28_60:
	s_or_b64 exec, exec, s[0:1]
	v_cmp_lt_i64_e32 vcc, v[12:13], v[14:15]
	s_and_saveexec_b64 s[0:1], vcc
	s_cbranch_execnz .LBB28_65
	s_branch .LBB28_68
.LBB28_61:
	s_movk_i32 s8, 0x1ff
	v_mad_u64_u32 v[12:13], s[6:7], v10, s8, 0
	v_mov_b32_e32 v14, v13
	v_mad_u64_u32 v[14:15], s[6:7], v11, s8, v[14:15]
	v_mov_b32_e32 v13, v14
	v_lshrrev_b64 v[14:15], 9, v[12:13]
	v_lshlrev_b64 v[12:13], 2, v[14:15]
	v_mov_b32_e32 v16, s3
	v_add_co_u32_e32 v12, vcc, s2, v12
	v_addc_co_u32_e32 v13, vcc, v16, v13, vcc
	global_load_dword v12, v[12:13], off
	v_add_co_u32_e32 v16, vcc, 1, v14
	v_addc_co_u32_e32 v13, vcc, 0, v15, vcc
	s_waitcnt vmcnt(0)
	v_cmp_lt_i32_e32 vcc, v12, v18
	v_cndmask_b32_e32 v13, 0, v13, vcc
	v_cndmask_b32_e32 v12, 0, v16, vcc
	;; [unrolled: 1-line block ×4, first 2 shown]
	s_or_b64 exec, exec, s[0:1]
	v_cmp_lt_i64_e32 vcc, v[12:13], v[14:15]
	s_and_saveexec_b64 s[0:1], vcc
	s_cbranch_execz .LBB28_58
.LBB28_62:
	s_movk_i32 s8, 0x7f
	v_mad_u64_u32 v[16:17], s[6:7], v14, s8, v[12:13]
	v_mov_b32_e32 v20, v17
	v_mad_u64_u32 v[20:21], s[6:7], v15, s8, v[20:21]
	v_mov_b32_e32 v17, v20
	v_lshrrev_b64 v[16:17], 7, v[16:17]
	v_lshlrev_b64 v[20:21], 2, v[16:17]
	v_mov_b32_e32 v19, s3
	v_add_co_u32_e32 v20, vcc, s2, v20
	v_addc_co_u32_e32 v21, vcc, v19, v21, vcc
	global_load_dword v19, v[20:21], off
	v_add_co_u32_e32 v20, vcc, 1, v16
	v_addc_co_u32_e32 v21, vcc, 0, v17, vcc
	s_waitcnt vmcnt(0)
	v_cmp_lt_i32_e32 vcc, v19, v18
	v_cndmask_b32_e32 v13, v13, v21, vcc
	v_cndmask_b32_e32 v12, v12, v20, vcc
	;; [unrolled: 1-line block ×4, first 2 shown]
	s_or_b64 exec, exec, s[0:1]
	v_cmp_lt_i64_e32 vcc, v[12:13], v[14:15]
	s_and_saveexec_b64 s[0:1], vcc
	s_cbranch_execz .LBB28_59
.LBB28_63:
	v_mad_u64_u32 v[16:17], s[6:7], v14, 31, v[12:13]
	v_mov_b32_e32 v20, v17
	v_mad_u64_u32 v[20:21], s[6:7], v15, 31, v[20:21]
	v_mov_b32_e32 v17, v20
	v_lshrrev_b64 v[16:17], 5, v[16:17]
	v_lshlrev_b64 v[20:21], 2, v[16:17]
	v_mov_b32_e32 v19, s3
	v_add_co_u32_e32 v20, vcc, s2, v20
	v_addc_co_u32_e32 v21, vcc, v19, v21, vcc
	global_load_dword v19, v[20:21], off
	v_add_co_u32_e32 v20, vcc, 1, v16
	v_addc_co_u32_e32 v21, vcc, 0, v17, vcc
	s_waitcnt vmcnt(0)
	v_cmp_lt_i32_e32 vcc, v19, v18
	v_cndmask_b32_e32 v13, v13, v21, vcc
	v_cndmask_b32_e32 v12, v12, v20, vcc
	;; [unrolled: 1-line block ×4, first 2 shown]
	s_or_b64 exec, exec, s[0:1]
	v_cmp_lt_i64_e32 vcc, v[12:13], v[14:15]
	s_and_saveexec_b64 s[0:1], vcc
	s_cbranch_execz .LBB28_60
.LBB28_64:
	v_mad_u64_u32 v[16:17], s[6:7], v14, 15, v[12:13]
	v_mov_b32_e32 v20, v17
	v_mad_u64_u32 v[20:21], s[6:7], v15, 15, v[20:21]
	v_mov_b32_e32 v17, v20
	v_lshrrev_b64 v[16:17], 4, v[16:17]
	v_lshlrev_b64 v[20:21], 2, v[16:17]
	v_mov_b32_e32 v19, s3
	v_add_co_u32_e32 v20, vcc, s2, v20
	v_addc_co_u32_e32 v21, vcc, v19, v21, vcc
	global_load_dword v19, v[20:21], off
	v_add_co_u32_e32 v20, vcc, 1, v16
	v_addc_co_u32_e32 v21, vcc, 0, v17, vcc
	s_waitcnt vmcnt(0)
	v_cmp_lt_i32_e32 vcc, v19, v18
	v_cndmask_b32_e32 v13, v13, v21, vcc
	v_cndmask_b32_e32 v12, v12, v20, vcc
	;; [unrolled: 1-line block ×4, first 2 shown]
	s_or_b64 exec, exec, s[0:1]
	v_cmp_lt_i64_e32 vcc, v[12:13], v[14:15]
	s_and_saveexec_b64 s[0:1], vcc
	s_cbranch_execz .LBB28_68
.LBB28_65:
	s_mov_b64 s[6:7], 0
	v_mov_b32_e32 v16, s3
.LBB28_66:                              ; =>This Inner Loop Header: Depth=1
	v_add_co_u32_e32 v20, vcc, v12, v14
	v_addc_co_u32_e32 v21, vcc, v13, v15, vcc
	v_ashrrev_i64 v[20:21], 1, v[20:21]
	v_lshlrev_b64 v[22:23], 2, v[20:21]
	v_add_co_u32_e32 v22, vcc, s2, v22
	v_addc_co_u32_e32 v23, vcc, v16, v23, vcc
	global_load_dword v17, v[22:23], off
	v_add_co_u32_e32 v19, vcc, 1, v20
	v_addc_co_u32_e32 v22, vcc, 0, v21, vcc
	s_waitcnt vmcnt(0)
	v_cmp_lt_i32_e32 vcc, v17, v18
	v_cndmask_b32_e32 v13, v13, v22, vcc
	v_cndmask_b32_e32 v12, v12, v19, vcc
	;; [unrolled: 1-line block ×4, first 2 shown]
	v_cmp_ge_i64_e32 vcc, v[12:13], v[14:15]
	s_or_b64 s[6:7], vcc, s[6:7]
	s_andn2_b64 exec, exec, s[6:7]
	s_cbranch_execnz .LBB28_66
; %bb.67:
	s_or_b64 exec, exec, s[6:7]
.LBB28_68:
	s_or_b64 exec, exec, s[0:1]
	v_sub_co_u32_e32 v2, vcc, v2, v4
	v_subb_co_u32_e32 v3, vcc, v3, v5, vcc
	v_sub_co_u32_e32 v16, vcc, v10, v12
	v_subb_co_u32_e32 v17, vcc, v11, v13, vcc
	v_add_co_u32_e32 v14, vcc, v16, v2
	v_addc_co_u32_e32 v15, vcc, v17, v3, vcc
	v_ashrrev_i64 v[2:3], 1, v[14:15]
	v_cmp_gt_i64_e32 vcc, v[2:3], v[16:17]
	v_cndmask_b32_e32 v2, v16, v2, vcc
	v_cndmask_b32_e32 v3, v17, v3, vcc
	v_add_co_u32_e32 v12, vcc, v12, v2
	v_addc_co_u32_e32 v13, vcc, v13, v3, vcc
	v_add_co_u32_e32 v12, vcc, 1, v12
	v_addc_co_u32_e32 v13, vcc, 0, v13, vcc
	v_mov_b32_e32 v19, s11
	v_cmp_gt_i64_e32 vcc, s[10:11], v[12:13]
	v_cndmask_b32_e32 v13, v19, v13, vcc
	v_mov_b32_e32 v19, s10
	v_cndmask_b32_e32 v12, v19, v12, vcc
	v_sub_co_u32_e32 v12, vcc, v12, v10
	v_subb_co_u32_e32 v13, vcc, v13, v11, vcc
	s_mov_b64 s[2:3], 0
	v_cmp_lt_i64_e32 vcc, 0, v[12:13]
	v_pk_mov_b32 v[10:11], 0, 0
	s_and_saveexec_b64 s[0:1], vcc
	s_cbranch_execz .LBB28_72
; %bb.69:
	v_pk_mov_b32 v[10:11], 0, 0
.LBB28_70:                              ; =>This Inner Loop Header: Depth=1
	v_add_co_u32_e32 v20, vcc, v10, v12
	v_addc_co_u32_e32 v21, vcc, v11, v13, vcc
	v_ashrrev_i64 v[20:21], 1, v[20:21]
	v_lshlrev_b64 v[22:23], 2, v[20:21]
	v_add_co_u32_e32 v22, vcc, v8, v22
	v_addc_co_u32_e32 v23, vcc, v9, v23, vcc
	global_load_dword v19, v[22:23], off
	v_add_co_u32_e32 v22, vcc, 1, v20
	v_addc_co_u32_e32 v23, vcc, 0, v21, vcc
	s_waitcnt vmcnt(0)
	v_cmp_gt_i32_e32 vcc, v19, v18
	v_cndmask_b32_e32 v11, v23, v11, vcc
	v_cndmask_b32_e32 v10, v22, v10, vcc
	;; [unrolled: 1-line block ×4, first 2 shown]
	v_cmp_ge_i64_e32 vcc, v[10:11], v[12:13]
	s_or_b64 s[2:3], vcc, s[2:3]
	s_andn2_b64 exec, exec, s[2:3]
	s_cbranch_execnz .LBB28_70
; %bb.71:
	s_or_b64 exec, exec, s[2:3]
	v_ashrrev_i32_e32 v11, 31, v10
.LBB28_72:
	s_or_b64 exec, exec, s[0:1]
	v_add_co_u32_e32 v8, vcc, v10, v16
	v_addc_co_u32_e32 v9, vcc, v11, v17, vcc
	v_cmp_lt_i64_e32 vcc, v[8:9], v[2:3]
	v_cndmask_b32_e32 v12, v2, v8, vcc
	v_cndmask_b32_e32 v13, v3, v9, vcc
	v_sub_co_u32_e32 v10, vcc, v14, v12
	v_subb_co_u32_e32 v11, vcc, v15, v13, vcc
	v_add_co_u32_e32 v12, vcc, 1, v12
	v_addc_co_u32_e32 v13, vcc, 0, v13, vcc
	v_cmp_eq_u64_e32 vcc, v[10:11], v[12:13]
	v_cmp_lt_i64_e64 s[0:1], v[2:3], v[8:9]
	s_and_b64 s[0:1], vcc, s[0:1]
	v_cndmask_b32_e64 v8, 0, 1, s[0:1]
	s_mov_b32 s0, 0
	v_add_co_u32_e32 v2, vcc, v10, v4
	v_mov_b32_e32 v9, s0
	v_addc_co_u32_e32 v3, vcc, v11, v5, vcc
.LBB28_73:
	s_or_b64 exec, exec, s[4:5]
	v_add_co_u32_e32 v0, vcc, v8, v0
	v_addc_co_u32_e32 v1, vcc, v9, v1, vcc
	v_sub_co_u32_e32 v4, vcc, v0, v2
	v_subb_co_u32_e32 v5, vcc, v1, v3, vcc
	s_mov_b64 s[0:1], -1
.LBB28_74:
	s_and_saveexec_b64 s[2:3], s[0:1]
	s_cbranch_execnz .LBB28_76
; %bb.75:
	s_endpgm
.LBB28_76:
	v_lshlrev_b64 v[0:1], 4, v[6:7]
	v_mov_b32_e32 v6, s13
	v_add_co_u32_e32 v0, vcc, s12, v0
	v_addc_co_u32_e32 v1, vcc, v6, v1, vcc
	global_store_dwordx4 v[0:1], v[2:5], off
	s_endpgm
	.section	.rodata,"a",@progbits
	.p2align	6, 0x0
	.amdhsa_kernel _ZN6thrust23THRUST_200600_302600_NS11hip_rocprim14__parallel_for6kernelILj256EZNS1_16__set_operations9doit_stepILb0ENS0_6detail15normal_iteratorINS0_10device_ptrIKiEEEESB_PiSC_lNS0_16discard_iteratorINS0_11use_defaultEEESC_NS0_4lessIiEENS4_23serial_set_intersectionEEE10hipError_tPvRmT0_T1_T2_T3_T4_SQ_T5_T6_PSQ_T7_T8_P12ihipStream_tbEUllE_jLj1EEEvSM_SN_SN_
		.amdhsa_group_segment_fixed_size 0
		.amdhsa_private_segment_fixed_size 0
		.amdhsa_kernarg_size 56
		.amdhsa_user_sgpr_count 6
		.amdhsa_user_sgpr_private_segment_buffer 1
		.amdhsa_user_sgpr_dispatch_ptr 0
		.amdhsa_user_sgpr_queue_ptr 0
		.amdhsa_user_sgpr_kernarg_segment_ptr 1
		.amdhsa_user_sgpr_dispatch_id 0
		.amdhsa_user_sgpr_flat_scratch_init 0
		.amdhsa_user_sgpr_kernarg_preload_length 0
		.amdhsa_user_sgpr_kernarg_preload_offset 0
		.amdhsa_user_sgpr_private_segment_size 0
		.amdhsa_uses_dynamic_stack 0
		.amdhsa_system_sgpr_private_segment_wavefront_offset 0
		.amdhsa_system_sgpr_workgroup_id_x 1
		.amdhsa_system_sgpr_workgroup_id_y 0
		.amdhsa_system_sgpr_workgroup_id_z 0
		.amdhsa_system_sgpr_workgroup_info 0
		.amdhsa_system_vgpr_workitem_id 0
		.amdhsa_next_free_vgpr 25
		.amdhsa_next_free_sgpr 22
		.amdhsa_accum_offset 28
		.amdhsa_reserve_vcc 1
		.amdhsa_reserve_flat_scratch 0
		.amdhsa_float_round_mode_32 0
		.amdhsa_float_round_mode_16_64 0
		.amdhsa_float_denorm_mode_32 3
		.amdhsa_float_denorm_mode_16_64 3
		.amdhsa_dx10_clamp 1
		.amdhsa_ieee_mode 1
		.amdhsa_fp16_overflow 0
		.amdhsa_tg_split 0
		.amdhsa_exception_fp_ieee_invalid_op 0
		.amdhsa_exception_fp_denorm_src 0
		.amdhsa_exception_fp_ieee_div_zero 0
		.amdhsa_exception_fp_ieee_overflow 0
		.amdhsa_exception_fp_ieee_underflow 0
		.amdhsa_exception_fp_ieee_inexact 0
		.amdhsa_exception_int_div_zero 0
	.end_amdhsa_kernel
	.section	.text._ZN6thrust23THRUST_200600_302600_NS11hip_rocprim14__parallel_for6kernelILj256EZNS1_16__set_operations9doit_stepILb0ENS0_6detail15normal_iteratorINS0_10device_ptrIKiEEEESB_PiSC_lNS0_16discard_iteratorINS0_11use_defaultEEESC_NS0_4lessIiEENS4_23serial_set_intersectionEEE10hipError_tPvRmT0_T1_T2_T3_T4_SQ_T5_T6_PSQ_T7_T8_P12ihipStream_tbEUllE_jLj1EEEvSM_SN_SN_,"axG",@progbits,_ZN6thrust23THRUST_200600_302600_NS11hip_rocprim14__parallel_for6kernelILj256EZNS1_16__set_operations9doit_stepILb0ENS0_6detail15normal_iteratorINS0_10device_ptrIKiEEEESB_PiSC_lNS0_16discard_iteratorINS0_11use_defaultEEESC_NS0_4lessIiEENS4_23serial_set_intersectionEEE10hipError_tPvRmT0_T1_T2_T3_T4_SQ_T5_T6_PSQ_T7_T8_P12ihipStream_tbEUllE_jLj1EEEvSM_SN_SN_,comdat
.Lfunc_end28:
	.size	_ZN6thrust23THRUST_200600_302600_NS11hip_rocprim14__parallel_for6kernelILj256EZNS1_16__set_operations9doit_stepILb0ENS0_6detail15normal_iteratorINS0_10device_ptrIKiEEEESB_PiSC_lNS0_16discard_iteratorINS0_11use_defaultEEESC_NS0_4lessIiEENS4_23serial_set_intersectionEEE10hipError_tPvRmT0_T1_T2_T3_T4_SQ_T5_T6_PSQ_T7_T8_P12ihipStream_tbEUllE_jLj1EEEvSM_SN_SN_, .Lfunc_end28-_ZN6thrust23THRUST_200600_302600_NS11hip_rocprim14__parallel_for6kernelILj256EZNS1_16__set_operations9doit_stepILb0ENS0_6detail15normal_iteratorINS0_10device_ptrIKiEEEESB_PiSC_lNS0_16discard_iteratorINS0_11use_defaultEEESC_NS0_4lessIiEENS4_23serial_set_intersectionEEE10hipError_tPvRmT0_T1_T2_T3_T4_SQ_T5_T6_PSQ_T7_T8_P12ihipStream_tbEUllE_jLj1EEEvSM_SN_SN_
                                        ; -- End function
	.section	.AMDGPU.csdata,"",@progbits
; Kernel info:
; codeLenInByte = 3988
; NumSgprs: 26
; NumVgprs: 25
; NumAgprs: 0
; TotalNumVgprs: 25
; ScratchSize: 0
; MemoryBound: 0
; FloatMode: 240
; IeeeMode: 1
; LDSByteSize: 0 bytes/workgroup (compile time only)
; SGPRBlocks: 3
; VGPRBlocks: 3
; NumSGPRsForWavesPerEU: 26
; NumVGPRsForWavesPerEU: 25
; AccumOffset: 28
; Occupancy: 8
; WaveLimiterHint : 0
; COMPUTE_PGM_RSRC2:SCRATCH_EN: 0
; COMPUTE_PGM_RSRC2:USER_SGPR: 6
; COMPUTE_PGM_RSRC2:TRAP_HANDLER: 0
; COMPUTE_PGM_RSRC2:TGID_X_EN: 1
; COMPUTE_PGM_RSRC2:TGID_Y_EN: 0
; COMPUTE_PGM_RSRC2:TGID_Z_EN: 0
; COMPUTE_PGM_RSRC2:TIDIG_COMP_CNT: 0
; COMPUTE_PGM_RSRC3_GFX90A:ACCUM_OFFSET: 6
; COMPUTE_PGM_RSRC3_GFX90A:TG_SPLIT: 0
	.section	.text._ZN6thrust23THRUST_200600_302600_NS11hip_rocprim16__set_operations22lookback_set_op_kernelIN7rocprim17ROCPRIM_400000_NS13kernel_configILj256ELj16ELj4294967295EEELb0ENS0_6detail15normal_iteratorINS0_10device_ptrIKiEEEESD_PiSE_lNS0_16discard_iteratorINS0_11use_defaultEEESE_NS0_4lessIiEENS2_23serial_set_intersectionENS5_6detail19lookback_scan_stateIlLb0ELb1EEEEEvT1_T2_T3_T4_T6_T7_T8_T9_PNS0_4pairIT5_SX_EEPSX_T10_NSL_16ordered_block_idIjEE,"axG",@progbits,_ZN6thrust23THRUST_200600_302600_NS11hip_rocprim16__set_operations22lookback_set_op_kernelIN7rocprim17ROCPRIM_400000_NS13kernel_configILj256ELj16ELj4294967295EEELb0ENS0_6detail15normal_iteratorINS0_10device_ptrIKiEEEESD_PiSE_lNS0_16discard_iteratorINS0_11use_defaultEEESE_NS0_4lessIiEENS2_23serial_set_intersectionENS5_6detail19lookback_scan_stateIlLb0ELb1EEEEEvT1_T2_T3_T4_T6_T7_T8_T9_PNS0_4pairIT5_SX_EEPSX_T10_NSL_16ordered_block_idIjEE,comdat
	.protected	_ZN6thrust23THRUST_200600_302600_NS11hip_rocprim16__set_operations22lookback_set_op_kernelIN7rocprim17ROCPRIM_400000_NS13kernel_configILj256ELj16ELj4294967295EEELb0ENS0_6detail15normal_iteratorINS0_10device_ptrIKiEEEESD_PiSE_lNS0_16discard_iteratorINS0_11use_defaultEEESE_NS0_4lessIiEENS2_23serial_set_intersectionENS5_6detail19lookback_scan_stateIlLb0ELb1EEEEEvT1_T2_T3_T4_T6_T7_T8_T9_PNS0_4pairIT5_SX_EEPSX_T10_NSL_16ordered_block_idIjEE ; -- Begin function _ZN6thrust23THRUST_200600_302600_NS11hip_rocprim16__set_operations22lookback_set_op_kernelIN7rocprim17ROCPRIM_400000_NS13kernel_configILj256ELj16ELj4294967295EEELb0ENS0_6detail15normal_iteratorINS0_10device_ptrIKiEEEESD_PiSE_lNS0_16discard_iteratorINS0_11use_defaultEEESE_NS0_4lessIiEENS2_23serial_set_intersectionENS5_6detail19lookback_scan_stateIlLb0ELb1EEEEEvT1_T2_T3_T4_T6_T7_T8_T9_PNS0_4pairIT5_SX_EEPSX_T10_NSL_16ordered_block_idIjEE
	.globl	_ZN6thrust23THRUST_200600_302600_NS11hip_rocprim16__set_operations22lookback_set_op_kernelIN7rocprim17ROCPRIM_400000_NS13kernel_configILj256ELj16ELj4294967295EEELb0ENS0_6detail15normal_iteratorINS0_10device_ptrIKiEEEESD_PiSE_lNS0_16discard_iteratorINS0_11use_defaultEEESE_NS0_4lessIiEENS2_23serial_set_intersectionENS5_6detail19lookback_scan_stateIlLb0ELb1EEEEEvT1_T2_T3_T4_T6_T7_T8_T9_PNS0_4pairIT5_SX_EEPSX_T10_NSL_16ordered_block_idIjEE
	.p2align	8
	.type	_ZN6thrust23THRUST_200600_302600_NS11hip_rocprim16__set_operations22lookback_set_op_kernelIN7rocprim17ROCPRIM_400000_NS13kernel_configILj256ELj16ELj4294967295EEELb0ENS0_6detail15normal_iteratorINS0_10device_ptrIKiEEEESD_PiSE_lNS0_16discard_iteratorINS0_11use_defaultEEESE_NS0_4lessIiEENS2_23serial_set_intersectionENS5_6detail19lookback_scan_stateIlLb0ELb1EEEEEvT1_T2_T3_T4_T6_T7_T8_T9_PNS0_4pairIT5_SX_EEPSX_T10_NSL_16ordered_block_idIjEE,@function
_ZN6thrust23THRUST_200600_302600_NS11hip_rocprim16__set_operations22lookback_set_op_kernelIN7rocprim17ROCPRIM_400000_NS13kernel_configILj256ELj16ELj4294967295EEELb0ENS0_6detail15normal_iteratorINS0_10device_ptrIKiEEEESD_PiSE_lNS0_16discard_iteratorINS0_11use_defaultEEESE_NS0_4lessIiEENS2_23serial_set_intersectionENS5_6detail19lookback_scan_stateIlLb0ELb1EEEEEvT1_T2_T3_T4_T6_T7_T8_T9_PNS0_4pairIT5_SX_EEPSX_T10_NSL_16ordered_block_idIjEE: ; @_ZN6thrust23THRUST_200600_302600_NS11hip_rocprim16__set_operations22lookback_set_op_kernelIN7rocprim17ROCPRIM_400000_NS13kernel_configILj256ELj16ELj4294967295EEELb0ENS0_6detail15normal_iteratorINS0_10device_ptrIKiEEEESD_PiSE_lNS0_16discard_iteratorINS0_11use_defaultEEESE_NS0_4lessIiEENS2_23serial_set_intersectionENS5_6detail19lookback_scan_stateIlLb0ELb1EEEEEvT1_T2_T3_T4_T6_T7_T8_T9_PNS0_4pairIT5_SX_EEPSX_T10_NSL_16ordered_block_idIjEE
; %bb.0:
	s_load_dword s0, s[4:5], 0x6c
	s_load_dword s16, s[4:5], 0x60
	s_load_dwordx8 s[8:15], s[4:5], 0x40
	v_bfe_u32 v1, v0, 10, 10
	v_bfe_u32 v2, v0, 20, 10
	s_waitcnt lgkmcnt(0)
	s_lshr_b32 s1, s0, 16
	s_and_b32 s0, s0, 0xffff
	v_mad_u32_u24 v1, v2, s1, v1
	v_and_b32_e32 v18, 0x3ff, v0
	v_mul_lo_u32 v1, v1, s0
	v_sub_u32_e32 v0, 0, v18
	v_cmp_eq_u32_e32 vcc, v1, v0
	s_and_saveexec_b64 s[0:1], vcc
	s_cbranch_execz .LBB29_4
; %bb.1:
	s_mov_b64 s[6:7], exec
	v_mbcnt_lo_u32_b32 v0, s6, 0
	v_mbcnt_hi_u32_b32 v0, s7, v0
	v_cmp_eq_u32_e32 vcc, 0, v0
                                        ; implicit-def: $vgpr1
	s_and_saveexec_b64 s[2:3], vcc
	s_cbranch_execz .LBB29_3
; %bb.2:
	s_bcnt1_i32_b64 s6, s[6:7]
	v_mov_b32_e32 v1, 0
	v_mov_b32_e32 v2, s6
	global_atomic_add v1, v1, v2, s[14:15] glc
.LBB29_3:
	s_or_b64 exec, exec, s[2:3]
	s_waitcnt vmcnt(0)
	v_readfirstlane_b32 s2, v1
	v_add_u32_e32 v0, s2, v0
	v_mov_b32_e32 v1, 0
	ds_write_b32 v1, v0 offset:36864
.LBB29_4:
	s_or_b64 exec, exec, s[0:1]
	v_mov_b32_e32 v8, 0
	s_waitcnt lgkmcnt(0)
	s_barrier
	ds_read_b32 v9, v8 offset:36864
	s_add_i32 s16, s16, -1
	s_waitcnt lgkmcnt(0)
	v_readfirstlane_b32 s14, v9
	s_ashr_i32 s15, s14, 31
	s_lshl_b64 s[0:1], s[14:15], 4
	s_add_u32 s0, s8, s0
	s_addc_u32 s1, s9, s1
	global_load_dwordx4 v[0:3], v8, s[0:1] offset:16
	global_load_dwordx4 v[4:7], v8, s[0:1]
	s_load_dwordx4 s[0:3], s[4:5], 0x0
	v_cmp_le_i32_e32 vcc, s16, v9
	s_and_b64 vcc, exec, vcc
	s_waitcnt lgkmcnt(0)
	v_mov_b32_e32 v8, s1
	v_mov_b32_e32 v10, s3
	s_waitcnt vmcnt(0)
	v_sub_u32_e32 v19, v0, v4
	v_lshlrev_b64 v[0:1], 2, v[4:5]
	v_add_co_u32_e64 v23, s[0:1], s0, v0
	v_sub_u32_e32 v20, v2, v6
	v_lshlrev_b64 v[2:3], 2, v[6:7]
	v_addc_co_u32_e64 v24, s[0:1], v8, v1, s[0:1]
	v_add_co_u32_e64 v21, s[0:1], s2, v2
	v_addc_co_u32_e64 v22, s[0:1], v10, v3, s[0:1]
	s_mov_b64 s[0:1], -1
	s_cbranch_vccnz .LBB29_7
; %bb.5:
	s_and_b64 vcc, exec, s[0:1]
	s_cbranch_vccnz .LBB29_202
.LBB29_6:
	s_endpgm
.LBB29_7:
	v_add_u32_e32 v16, v20, v19
	v_cmp_lt_i32_e32 vcc, v18, v16
                                        ; implicit-def: $vgpr0_vgpr1_vgpr2_vgpr3_vgpr4_vgpr5_vgpr6_vgpr7_vgpr8_vgpr9_vgpr10_vgpr11_vgpr12_vgpr13_vgpr14_vgpr15
	s_and_saveexec_b64 s[0:1], vcc
	s_cbranch_execz .LBB29_9
; %bb.8:
	v_lshlrev_b32_e32 v0, 2, v18
	v_add_co_u32_e32 v2, vcc, v23, v0
	v_sub_u32_e32 v0, v18, v19
	v_ashrrev_i32_e32 v1, 31, v0
	v_addc_co_u32_e32 v3, vcc, 0, v24, vcc
	v_lshlrev_b64 v[0:1], 2, v[0:1]
	v_add_co_u32_e32 v0, vcc, v21, v0
	v_addc_co_u32_e32 v1, vcc, v22, v1, vcc
	v_cmp_lt_i32_e32 vcc, v18, v19
	v_cndmask_b32_e32 v1, v1, v3, vcc
	v_cndmask_b32_e32 v0, v0, v2, vcc
	global_load_dword v0, v[0:1], off
.LBB29_9:
	s_or_b64 exec, exec, s[0:1]
	v_add_u32_e32 v17, 0x100, v18
	v_cmp_lt_i32_e32 vcc, v17, v16
	s_and_saveexec_b64 s[0:1], vcc
	s_cbranch_execz .LBB29_11
; %bb.10:
	v_lshlrev_b32_e32 v1, 2, v18
	v_add_co_u32_e32 v1, vcc, v23, v1
	v_addc_co_u32_e32 v25, vcc, 0, v24, vcc
	v_ashrrev_i32_e32 v27, 31, v19
	v_sub_co_u32_e32 v26, vcc, v18, v19
	v_subb_co_u32_e32 v27, vcc, 0, v27, vcc
	v_lshlrev_b64 v[26:27], 2, v[26:27]
	v_add_co_u32_e32 v26, vcc, v21, v26
	v_addc_co_u32_e32 v27, vcc, v22, v27, vcc
	v_cmp_lt_i32_e32 vcc, v17, v19
	v_cndmask_b32_e32 v27, v27, v25, vcc
	v_cndmask_b32_e32 v26, v26, v1, vcc
	global_load_dword v1, v[26:27], off offset:1024
.LBB29_11:
	s_or_b64 exec, exec, s[0:1]
	v_add_u32_e32 v17, 0x200, v18
	v_cmp_lt_i32_e32 vcc, v17, v16
	s_and_saveexec_b64 s[0:1], vcc
	s_cbranch_execz .LBB29_13
; %bb.12:
	v_lshlrev_b32_e32 v2, 2, v18
	v_add_co_u32_e32 v2, vcc, v23, v2
	v_addc_co_u32_e32 v25, vcc, 0, v24, vcc
	v_ashrrev_i32_e32 v27, 31, v19
	v_sub_co_u32_e32 v26, vcc, v18, v19
	v_subb_co_u32_e32 v27, vcc, 0, v27, vcc
	v_lshlrev_b64 v[26:27], 2, v[26:27]
	v_add_co_u32_e32 v26, vcc, v21, v26
	v_addc_co_u32_e32 v27, vcc, v22, v27, vcc
	v_cmp_lt_i32_e32 vcc, v17, v19
	v_cndmask_b32_e32 v27, v27, v25, vcc
	v_cndmask_b32_e32 v26, v26, v2, vcc
	global_load_dword v2, v[26:27], off offset:2048
.LBB29_13:
	;; [unrolled: 20-line block ×3, first 2 shown]
	s_or_b64 exec, exec, s[0:1]
	v_or_b32_e32 v17, 0x400, v18
	v_cmp_lt_i32_e32 vcc, v17, v16
	s_and_saveexec_b64 s[0:1], vcc
	s_cbranch_execz .LBB29_17
; %bb.16:
	v_lshlrev_b32_e32 v4, 2, v17
	v_sub_u32_e32 v26, v17, v19
	v_add_co_u32_e32 v4, vcc, v23, v4
	v_ashrrev_i32_e32 v27, 31, v26
	v_addc_co_u32_e32 v25, vcc, 0, v24, vcc
	v_lshlrev_b64 v[26:27], 2, v[26:27]
	v_add_co_u32_e32 v26, vcc, v21, v26
	v_addc_co_u32_e32 v27, vcc, v22, v27, vcc
	v_cmp_lt_i32_e32 vcc, v17, v19
	v_cndmask_b32_e32 v27, v27, v25, vcc
	v_cndmask_b32_e32 v26, v26, v4, vcc
	global_load_dword v4, v[26:27], off
.LBB29_17:
	s_or_b64 exec, exec, s[0:1]
	v_add_u32_e32 v17, 0x500, v18
	v_cmp_lt_i32_e32 vcc, v17, v16
	s_and_saveexec_b64 s[0:1], vcc
	s_cbranch_execz .LBB29_19
; %bb.18:
	v_lshlrev_b32_e32 v5, 2, v17
	v_sub_u32_e32 v26, v17, v19
	v_add_co_u32_e32 v5, vcc, v23, v5
	v_ashrrev_i32_e32 v27, 31, v26
	v_addc_co_u32_e32 v25, vcc, 0, v24, vcc
	v_lshlrev_b64 v[26:27], 2, v[26:27]
	v_add_co_u32_e32 v26, vcc, v21, v26
	v_addc_co_u32_e32 v27, vcc, v22, v27, vcc
	v_cmp_lt_i32_e32 vcc, v17, v19
	v_cndmask_b32_e32 v27, v27, v25, vcc
	v_cndmask_b32_e32 v26, v26, v5, vcc
	global_load_dword v5, v[26:27], off
.LBB29_19:
	s_or_b64 exec, exec, s[0:1]
	v_add_u32_e32 v17, 0x600, v18
	;; [unrolled: 19-line block ×3, first 2 shown]
	v_cmp_lt_i32_e32 vcc, v17, v16
	s_and_saveexec_b64 s[0:1], vcc
	s_cbranch_execz .LBB29_23
; %bb.22:
	v_lshlrev_b32_e32 v7, 2, v17
	v_sub_u32_e32 v26, v17, v19
	v_add_co_u32_e32 v7, vcc, v23, v7
	v_ashrrev_i32_e32 v27, 31, v26
	v_addc_co_u32_e32 v25, vcc, 0, v24, vcc
	v_lshlrev_b64 v[26:27], 2, v[26:27]
	v_add_co_u32_e32 v26, vcc, v21, v26
	v_addc_co_u32_e32 v27, vcc, v22, v27, vcc
	v_cmp_lt_i32_e32 vcc, v17, v19
	v_cndmask_b32_e32 v27, v27, v25, vcc
	v_cndmask_b32_e32 v26, v26, v7, vcc
	global_load_dword v7, v[26:27], off
.LBB29_23:
	s_or_b64 exec, exec, s[0:1]
	v_or_b32_e32 v17, 0x800, v18
	v_cmp_lt_i32_e32 vcc, v17, v16
	s_and_saveexec_b64 s[0:1], vcc
	s_cbranch_execz .LBB29_25
; %bb.24:
	v_lshlrev_b32_e32 v8, 2, v17
	v_sub_u32_e32 v26, v17, v19
	v_add_co_u32_e32 v8, vcc, v23, v8
	v_ashrrev_i32_e32 v27, 31, v26
	v_addc_co_u32_e32 v25, vcc, 0, v24, vcc
	v_lshlrev_b64 v[26:27], 2, v[26:27]
	v_add_co_u32_e32 v26, vcc, v21, v26
	v_addc_co_u32_e32 v27, vcc, v22, v27, vcc
	v_cmp_lt_i32_e32 vcc, v17, v19
	v_cndmask_b32_e32 v27, v27, v25, vcc
	v_cndmask_b32_e32 v26, v26, v8, vcc
	global_load_dword v8, v[26:27], off
.LBB29_25:
	s_or_b64 exec, exec, s[0:1]
	v_add_u32_e32 v17, 0x900, v18
	v_cmp_lt_i32_e32 vcc, v17, v16
	s_and_saveexec_b64 s[0:1], vcc
	s_cbranch_execz .LBB29_27
; %bb.26:
	v_lshlrev_b32_e32 v9, 2, v17
	v_sub_u32_e32 v26, v17, v19
	v_add_co_u32_e32 v9, vcc, v23, v9
	v_ashrrev_i32_e32 v27, 31, v26
	v_addc_co_u32_e32 v25, vcc, 0, v24, vcc
	v_lshlrev_b64 v[26:27], 2, v[26:27]
	v_add_co_u32_e32 v26, vcc, v21, v26
	v_addc_co_u32_e32 v27, vcc, v22, v27, vcc
	v_cmp_lt_i32_e32 vcc, v17, v19
	v_cndmask_b32_e32 v27, v27, v25, vcc
	v_cndmask_b32_e32 v26, v26, v9, vcc
	global_load_dword v9, v[26:27], off
.LBB29_27:
	s_or_b64 exec, exec, s[0:1]
	v_add_u32_e32 v17, 0xa00, v18
	v_cmp_lt_i32_e32 vcc, v17, v16
	s_and_saveexec_b64 s[0:1], vcc
	s_cbranch_execz .LBB29_29
; %bb.28:
	v_lshlrev_b32_e32 v10, 2, v17
	v_sub_u32_e32 v26, v17, v19
	v_add_co_u32_e32 v10, vcc, v23, v10
	v_ashrrev_i32_e32 v27, 31, v26
	v_addc_co_u32_e32 v25, vcc, 0, v24, vcc
	v_lshlrev_b64 v[26:27], 2, v[26:27]
	v_add_co_u32_e32 v26, vcc, v21, v26
	v_addc_co_u32_e32 v27, vcc, v22, v27, vcc
	v_cmp_lt_i32_e32 vcc, v17, v19
	v_cndmask_b32_e32 v27, v27, v25, vcc
	v_cndmask_b32_e32 v26, v26, v10, vcc
	global_load_dword v10, v[26:27], off
.LBB29_29:
	s_or_b64 exec, exec, s[0:1]
	v_add_u32_e32 v17, 0xb00, v18
	v_cmp_lt_i32_e32 vcc, v17, v16
	s_and_saveexec_b64 s[0:1], vcc
	s_cbranch_execz .LBB29_31
; %bb.30:
	v_lshlrev_b32_e32 v11, 2, v17
	v_sub_u32_e32 v26, v17, v19
	v_add_co_u32_e32 v11, vcc, v23, v11
	v_ashrrev_i32_e32 v27, 31, v26
	v_addc_co_u32_e32 v25, vcc, 0, v24, vcc
	v_lshlrev_b64 v[26:27], 2, v[26:27]
	v_add_co_u32_e32 v26, vcc, v21, v26
	v_addc_co_u32_e32 v27, vcc, v22, v27, vcc
	v_cmp_lt_i32_e32 vcc, v17, v19
	v_cndmask_b32_e32 v27, v27, v25, vcc
	v_cndmask_b32_e32 v26, v26, v11, vcc
	global_load_dword v11, v[26:27], off
.LBB29_31:
	s_or_b64 exec, exec, s[0:1]
	v_or_b32_e32 v17, 0xc00, v18
	v_cmp_lt_i32_e32 vcc, v17, v16
	s_and_saveexec_b64 s[0:1], vcc
	s_cbranch_execz .LBB29_33
; %bb.32:
	v_lshlrev_b32_e32 v12, 2, v17
	v_sub_u32_e32 v26, v17, v19
	v_add_co_u32_e32 v12, vcc, v23, v12
	v_ashrrev_i32_e32 v27, 31, v26
	v_addc_co_u32_e32 v25, vcc, 0, v24, vcc
	v_lshlrev_b64 v[26:27], 2, v[26:27]
	v_add_co_u32_e32 v26, vcc, v21, v26
	v_addc_co_u32_e32 v27, vcc, v22, v27, vcc
	v_cmp_lt_i32_e32 vcc, v17, v19
	v_cndmask_b32_e32 v27, v27, v25, vcc
	v_cndmask_b32_e32 v26, v26, v12, vcc
	global_load_dword v12, v[26:27], off
.LBB29_33:
	s_or_b64 exec, exec, s[0:1]
	v_add_u32_e32 v17, 0xd00, v18
	v_cmp_lt_i32_e32 vcc, v17, v16
	s_and_saveexec_b64 s[0:1], vcc
	s_cbranch_execz .LBB29_35
; %bb.34:
	v_lshlrev_b32_e32 v13, 2, v17
	v_sub_u32_e32 v26, v17, v19
	v_add_co_u32_e32 v13, vcc, v23, v13
	v_ashrrev_i32_e32 v27, 31, v26
	v_addc_co_u32_e32 v25, vcc, 0, v24, vcc
	v_lshlrev_b64 v[26:27], 2, v[26:27]
	v_add_co_u32_e32 v26, vcc, v21, v26
	v_addc_co_u32_e32 v27, vcc, v22, v27, vcc
	v_cmp_lt_i32_e32 vcc, v17, v19
	v_cndmask_b32_e32 v27, v27, v25, vcc
	v_cndmask_b32_e32 v26, v26, v13, vcc
	global_load_dword v13, v[26:27], off
.LBB29_35:
	s_or_b64 exec, exec, s[0:1]
	v_add_u32_e32 v17, 0xe00, v18
	;; [unrolled: 19-line block ×3, first 2 shown]
	v_cmp_lt_i32_e32 vcc, v17, v16
	s_and_saveexec_b64 s[0:1], vcc
	s_cbranch_execz .LBB29_39
; %bb.38:
	v_lshlrev_b32_e32 v15, 2, v17
	v_sub_u32_e32 v26, v17, v19
	v_add_co_u32_e32 v15, vcc, v23, v15
	v_ashrrev_i32_e32 v27, 31, v26
	v_addc_co_u32_e32 v25, vcc, 0, v24, vcc
	v_lshlrev_b64 v[26:27], 2, v[26:27]
	v_add_co_u32_e32 v26, vcc, v21, v26
	v_addc_co_u32_e32 v27, vcc, v22, v27, vcc
	v_cmp_lt_i32_e32 vcc, v17, v19
	v_cndmask_b32_e32 v27, v27, v25, vcc
	v_cndmask_b32_e32 v26, v26, v15, vcc
	global_load_dword v15, v[26:27], off
.LBB29_39:
	s_or_b64 exec, exec, s[0:1]
	v_lshlrev_b32_e32 v17, 2, v18
	s_waitcnt vmcnt(0)
	ds_write2st64_b32 v17, v0, v1 offset0:76 offset1:80
	ds_write2st64_b32 v17, v2, v3 offset0:84 offset1:88
	;; [unrolled: 1-line block ×8, first 2 shown]
	v_lshlrev_b32_e32 v0, 4, v18
	v_min_i32_e32 v1, v16, v0
	v_lshlrev_b32_e32 v0, 2, v19
	v_add_u32_e32 v4, 0x4800, v0
	v_sub_u32_e32 v0, v1, v20
	v_max_i32_e32 v0, 0, v0
	v_min_i32_e32 v2, v19, v1
	v_cmp_lt_i32_e32 vcc, v0, v2
	s_waitcnt lgkmcnt(0)
	s_barrier
	s_and_saveexec_b64 s[0:1], vcc
	s_cbranch_execz .LBB29_43
; %bb.40:
	v_lshl_add_u32 v3, v1, 2, v4
	v_add_u32_e32 v3, 0x400, v3
	s_mov_b64 s[2:3], 0
.LBB29_41:                              ; =>This Inner Loop Header: Depth=1
	v_add_u32_e32 v5, v2, v0
	v_ashrrev_i32_e32 v5, 1, v5
	v_not_b32_e32 v7, v5
	v_lshlrev_b32_e32 v6, 2, v5
	v_lshl_add_u32 v7, v7, 2, v3
	ds_read_b32 v6, v6 offset:19456
	ds_read_b32 v7, v7
	v_add_u32_e32 v8, 1, v5
	s_waitcnt lgkmcnt(0)
	v_cmp_lt_i32_e32 vcc, v7, v6
	v_cndmask_b32_e32 v2, v2, v5, vcc
	v_cndmask_b32_e32 v0, v8, v0, vcc
	v_cmp_ge_i32_e32 vcc, v0, v2
	s_or_b64 s[2:3], vcc, s[2:3]
	s_andn2_b64 exec, exec, s[2:3]
	s_cbranch_execnz .LBB29_41
; %bb.42:
	s_or_b64 exec, exec, s[2:3]
.LBB29_43:
	s_or_b64 exec, exec, s[0:1]
	v_sub_u32_e32 v5, v1, v0
	v_add_u32_e32 v25, 0x4800, v17
	v_cmp_lt_i32_e32 vcc, v5, v20
	v_mov_b32_e32 v3, 0
	s_and_saveexec_b64 s[2:3], vcc
	s_cbranch_execz .LBB29_73
; %bb.44:
	v_lshl_add_u32 v6, v5, 2, v4
	ds_read_b32 v3, v6 offset:1024
	v_cmp_lt_i32_e32 vcc, 0, v0
	v_mov_b32_e32 v2, 0
	v_mov_b32_e32 v7, v0
	s_and_saveexec_b64 s[0:1], vcc
	s_cbranch_execnz .LBB29_49
; %bb.45:
	s_or_b64 exec, exec, s[0:1]
	v_cmp_lt_i32_e32 vcc, v2, v7
	s_and_saveexec_b64 s[0:1], vcc
	s_cbranch_execnz .LBB29_50
.LBB29_46:
	s_or_b64 exec, exec, s[0:1]
	v_cmp_lt_i32_e32 vcc, v2, v7
	s_and_saveexec_b64 s[0:1], vcc
	s_cbranch_execnz .LBB29_51
.LBB29_47:
	s_or_b64 exec, exec, s[0:1]
	v_cmp_lt_i32_e32 vcc, v2, v7
	s_and_saveexec_b64 s[0:1], vcc
	s_cbranch_execnz .LBB29_52
.LBB29_48:
	s_or_b64 exec, exec, s[0:1]
	v_cmp_lt_i32_e32 vcc, v2, v7
	s_and_saveexec_b64 s[0:1], vcc
	s_cbranch_execnz .LBB29_53
	s_branch .LBB29_56
.LBB29_49:
	s_movk_i32 s4, 0x1ff
	v_mul_lo_u32 v2, v0, s4
	v_ashrrev_i32_e32 v7, 9, v2
	v_lshlrev_b32_e32 v2, 2, v7
	ds_read_b32 v2, v2 offset:19456
	v_add_u32_e32 v8, 1, v7
	s_waitcnt lgkmcnt(0)
	v_cmp_lt_i32_e32 vcc, v2, v3
	v_cndmask_b32_e32 v2, 0, v8, vcc
	v_cndmask_b32_e32 v7, v7, v0, vcc
	s_or_b64 exec, exec, s[0:1]
	v_cmp_lt_i32_e32 vcc, v2, v7
	s_and_saveexec_b64 s[0:1], vcc
	s_cbranch_execz .LBB29_46
.LBB29_50:
	v_sub_u32_e32 v8, v2, v7
	v_lshl_add_u32 v8, v7, 7, v8
	v_ashrrev_i32_e32 v8, 7, v8
	v_lshlrev_b32_e32 v9, 2, v8
	ds_read_b32 v9, v9 offset:19456
	v_add_u32_e32 v10, 1, v8
	s_waitcnt lgkmcnt(0)
	v_cmp_lt_i32_e32 vcc, v9, v3
	v_cndmask_b32_e32 v2, v2, v10, vcc
	v_cndmask_b32_e32 v7, v8, v7, vcc
	s_or_b64 exec, exec, s[0:1]
	v_cmp_lt_i32_e32 vcc, v2, v7
	s_and_saveexec_b64 s[0:1], vcc
	s_cbranch_execz .LBB29_47
.LBB29_51:
	v_sub_u32_e32 v8, v2, v7
	v_lshl_add_u32 v8, v7, 5, v8
	v_ashrrev_i32_e32 v8, 5, v8
	v_lshlrev_b32_e32 v9, 2, v8
	ds_read_b32 v9, v9 offset:19456
	v_add_u32_e32 v10, 1, v8
	s_waitcnt lgkmcnt(0)
	v_cmp_lt_i32_e32 vcc, v9, v3
	v_cndmask_b32_e32 v2, v2, v10, vcc
	v_cndmask_b32_e32 v7, v8, v7, vcc
	s_or_b64 exec, exec, s[0:1]
	v_cmp_lt_i32_e32 vcc, v2, v7
	s_and_saveexec_b64 s[0:1], vcc
	s_cbranch_execz .LBB29_48
.LBB29_52:
	v_sub_u32_e32 v8, v2, v7
	v_lshl_add_u32 v8, v7, 4, v8
	v_ashrrev_i32_e32 v8, 4, v8
	v_lshlrev_b32_e32 v9, 2, v8
	ds_read_b32 v9, v9 offset:19456
	v_add_u32_e32 v10, 1, v8
	s_waitcnt lgkmcnt(0)
	v_cmp_lt_i32_e32 vcc, v9, v3
	v_cndmask_b32_e32 v2, v2, v10, vcc
	v_cndmask_b32_e32 v7, v8, v7, vcc
	s_or_b64 exec, exec, s[0:1]
	v_cmp_lt_i32_e32 vcc, v2, v7
	s_and_saveexec_b64 s[0:1], vcc
	s_cbranch_execz .LBB29_56
.LBB29_53:
	s_mov_b64 s[4:5], 0
.LBB29_54:                              ; =>This Inner Loop Header: Depth=1
	v_sub_u32_e32 v8, v2, v7
	v_lshl_add_u32 v8, v7, 1, v8
	v_ashrrev_i32_e32 v8, 1, v8
	v_lshlrev_b32_e32 v9, 2, v8
	ds_read_b32 v9, v9 offset:19456
	v_add_u32_e32 v10, 1, v8
	s_waitcnt lgkmcnt(0)
	v_cmp_lt_i32_e32 vcc, v9, v3
	v_cndmask_b32_e32 v2, v2, v10, vcc
	v_cndmask_b32_e32 v7, v8, v7, vcc
	v_cmp_ge_i32_e32 vcc, v2, v7
	s_or_b64 s[4:5], vcc, s[4:5]
	s_andn2_b64 exec, exec, s[4:5]
	s_cbranch_execnz .LBB29_54
; %bb.55:
	s_or_b64 exec, exec, s[4:5]
.LBB29_56:
	s_or_b64 exec, exec, s[0:1]
	v_add_u32_e32 v6, 0x400, v6
	v_cmp_lt_i32_e32 vcc, 0, v5
	v_mov_b32_e32 v7, 0
	v_mov_b32_e32 v8, v5
	s_and_saveexec_b64 s[0:1], vcc
	s_cbranch_execnz .LBB29_61
; %bb.57:
	s_or_b64 exec, exec, s[0:1]
	v_cmp_lt_i32_e32 vcc, v7, v8
	s_and_saveexec_b64 s[0:1], vcc
	s_cbranch_execnz .LBB29_62
.LBB29_58:
	s_or_b64 exec, exec, s[0:1]
	v_cmp_lt_i32_e32 vcc, v7, v8
	s_and_saveexec_b64 s[0:1], vcc
	s_cbranch_execnz .LBB29_63
.LBB29_59:
	s_or_b64 exec, exec, s[0:1]
	v_cmp_lt_i32_e32 vcc, v7, v8
	s_and_saveexec_b64 s[0:1], vcc
	s_cbranch_execnz .LBB29_64
.LBB29_60:
	s_or_b64 exec, exec, s[0:1]
	v_cmp_lt_i32_e32 vcc, v7, v8
	s_and_saveexec_b64 s[0:1], vcc
	s_cbranch_execnz .LBB29_65
	s_branch .LBB29_68
.LBB29_61:
	s_movk_i32 s4, 0x1ff
	v_mul_lo_u32 v7, v5, s4
	v_ashrrev_i32_e32 v8, 9, v7
	v_lshl_add_u32 v7, v8, 2, v4
	ds_read_b32 v7, v7 offset:1024
	v_add_u32_e32 v9, 1, v8
	s_waitcnt lgkmcnt(0)
	v_cmp_lt_i32_e32 vcc, v7, v3
	v_cndmask_b32_e32 v7, 0, v9, vcc
	v_cndmask_b32_e32 v8, v8, v5, vcc
	s_or_b64 exec, exec, s[0:1]
	v_cmp_lt_i32_e32 vcc, v7, v8
	s_and_saveexec_b64 s[0:1], vcc
	s_cbranch_execz .LBB29_58
.LBB29_62:
	v_sub_u32_e32 v9, v7, v8
	v_lshl_add_u32 v9, v8, 7, v9
	v_ashrrev_i32_e32 v9, 7, v9
	v_lshl_add_u32 v10, v9, 2, v4
	ds_read_b32 v10, v10 offset:1024
	v_add_u32_e32 v11, 1, v9
	s_waitcnt lgkmcnt(0)
	v_cmp_lt_i32_e32 vcc, v10, v3
	v_cndmask_b32_e32 v7, v7, v11, vcc
	v_cndmask_b32_e32 v8, v9, v8, vcc
	s_or_b64 exec, exec, s[0:1]
	v_cmp_lt_i32_e32 vcc, v7, v8
	s_and_saveexec_b64 s[0:1], vcc
	s_cbranch_execz .LBB29_59
.LBB29_63:
	v_sub_u32_e32 v9, v7, v8
	v_lshl_add_u32 v9, v8, 5, v9
	v_ashrrev_i32_e32 v9, 5, v9
	v_lshl_add_u32 v10, v9, 2, v4
	ds_read_b32 v10, v10 offset:1024
	v_add_u32_e32 v11, 1, v9
	s_waitcnt lgkmcnt(0)
	v_cmp_lt_i32_e32 vcc, v10, v3
	v_cndmask_b32_e32 v7, v7, v11, vcc
	v_cndmask_b32_e32 v8, v9, v8, vcc
	s_or_b64 exec, exec, s[0:1]
	v_cmp_lt_i32_e32 vcc, v7, v8
	s_and_saveexec_b64 s[0:1], vcc
	s_cbranch_execz .LBB29_60
.LBB29_64:
	v_sub_u32_e32 v9, v7, v8
	v_lshl_add_u32 v9, v8, 4, v9
	v_ashrrev_i32_e32 v9, 4, v9
	v_lshl_add_u32 v10, v9, 2, v4
	ds_read_b32 v10, v10 offset:1024
	v_add_u32_e32 v11, 1, v9
	s_waitcnt lgkmcnt(0)
	v_cmp_lt_i32_e32 vcc, v10, v3
	v_cndmask_b32_e32 v7, v7, v11, vcc
	v_cndmask_b32_e32 v8, v9, v8, vcc
	s_or_b64 exec, exec, s[0:1]
	v_cmp_lt_i32_e32 vcc, v7, v8
	s_and_saveexec_b64 s[0:1], vcc
	s_cbranch_execz .LBB29_68
.LBB29_65:
	v_add_u32_e32 v4, 0x400, v4
	s_mov_b64 s[4:5], 0
.LBB29_66:                              ; =>This Inner Loop Header: Depth=1
	v_sub_u32_e32 v9, v7, v8
	v_lshl_add_u32 v9, v8, 1, v9
	v_ashrrev_i32_e32 v9, 1, v9
	v_lshl_add_u32 v10, v9, 2, v4
	ds_read_b32 v10, v10
	v_add_u32_e32 v11, 1, v9
	s_waitcnt lgkmcnt(0)
	v_cmp_lt_i32_e32 vcc, v10, v3
	v_cndmask_b32_e32 v7, v7, v11, vcc
	v_cndmask_b32_e32 v8, v9, v8, vcc
	v_cmp_ge_i32_e32 vcc, v7, v8
	s_or_b64 s[4:5], vcc, s[4:5]
	s_andn2_b64 exec, exec, s[4:5]
	s_cbranch_execnz .LBB29_66
; %bb.67:
	s_or_b64 exec, exec, s[4:5]
.LBB29_68:
	s_or_b64 exec, exec, s[0:1]
	v_sub_u32_e32 v0, v0, v2
	v_sub_u32_e32 v8, v5, v7
	v_add_u32_e32 v4, v8, v0
	v_ashrrev_i32_e32 v0, 1, v4
	v_max_i32_e32 v0, v0, v8
	v_add3_u32 v7, v7, v0, 1
	v_min_i32_e32 v7, v7, v20
	v_sub_u32_e32 v7, v7, v5
	v_cmp_lt_i32_e32 vcc, 0, v7
	v_mov_b32_e32 v5, 0
	s_and_saveexec_b64 s[0:1], vcc
	s_cbranch_execz .LBB29_72
; %bb.69:
	s_mov_b64 s[4:5], 0
	v_mov_b32_e32 v5, 0
.LBB29_70:                              ; =>This Inner Loop Header: Depth=1
	v_add_u32_e32 v9, v5, v7
	v_ashrrev_i32_e32 v9, 1, v9
	v_lshl_add_u32 v10, v9, 2, v6
	ds_read_b32 v10, v10
	v_add_u32_e32 v11, 1, v9
	s_waitcnt lgkmcnt(0)
	v_cmp_gt_i32_e32 vcc, v10, v3
	v_cndmask_b32_e32 v5, v11, v5, vcc
	v_cndmask_b32_e32 v7, v7, v9, vcc
	v_cmp_ge_i32_e32 vcc, v5, v7
	s_or_b64 s[4:5], vcc, s[4:5]
	s_andn2_b64 exec, exec, s[4:5]
	s_cbranch_execnz .LBB29_70
; %bb.71:
	s_or_b64 exec, exec, s[4:5]
.LBB29_72:
	s_or_b64 exec, exec, s[0:1]
	s_waitcnt lgkmcnt(0)
	v_add_u32_e32 v3, v5, v8
	v_min_i32_e32 v5, v3, v0
	v_sub_u32_e32 v4, v4, v5
	v_add_u32_e32 v5, 1, v5
	v_cmp_eq_u32_e32 vcc, v4, v5
	v_cmp_lt_i32_e64 s[0:1], v0, v3
	s_and_b64 s[0:1], s[0:1], vcc
	v_cndmask_b32_e64 v3, 0, 1, s[0:1]
	v_add_u32_e32 v0, v4, v2
.LBB29_73:
	s_or_b64 exec, exec, s[2:3]
	v_add_u32_e32 v1, v3, v1
	v_sub_u32_e32 v1, v1, v0
	v_lshlrev_b32_e32 v2, 16, v19
	v_or_b32_e32 v2, v2, v20
	v_lshl_or_b32 v3, v0, 16, v1
	v_cmp_eq_u32_e64 s[0:1], 0, v18
	v_cndmask_b32_e64 v2, v3, v2, s[0:1]
	v_add_u32_e32 v3, -1, v18
	v_mov_b32_e32 v4, 0xff
	v_cndmask_b32_e64 v3, v3, v4, s[0:1]
	v_lshlrev_b32_e32 v3, 2, v3
	ds_write_b32 v3, v2 offset:18432
	v_add_u32_e32 v3, v1, v19
	v_lshlrev_b32_e32 v6, 2, v0
	s_waitcnt lgkmcnt(0)
	s_barrier
	v_lshlrev_b32_e32 v7, 2, v3
	ds_read_b32 v27, v6 offset:19456
	ds_read_b32 v4, v7 offset:19456
	ds_read_b32 v2, v25
	v_mov_b32_e32 v5, v0
	s_waitcnt lgkmcnt(2)
	v_mov_b32_e32 v26, v27
	s_waitcnt lgkmcnt(1)
	v_cmp_ge_i32_e32 vcc, v4, v27
	s_and_saveexec_b64 s[2:3], vcc
	s_cbranch_execz .LBB29_75
; %bb.74:
	ds_read_b32 v26, v6 offset:19460
	v_add_u32_e32 v5, 1, v0
.LBB29_75:
	s_or_b64 exec, exec, s[2:3]
	v_cmp_ge_i32_e32 vcc, v27, v4
	v_mov_b32_e32 v6, v4
	s_and_saveexec_b64 s[2:3], vcc
	s_cbranch_execz .LBB29_77
; %bb.76:
	ds_read_b32 v6, v7 offset:19460
	v_add_u32_e32 v3, 1, v3
.LBB29_77:
	s_or_b64 exec, exec, s[2:3]
	s_waitcnt lgkmcnt(0)
	v_cmp_ge_i32_e32 vcc, v6, v26
	v_mov_b32_e32 v28, v26
	v_mov_b32_e32 v7, v5
	s_and_saveexec_b64 s[2:3], vcc
	s_cbranch_execz .LBB29_79
; %bb.78:
	v_lshlrev_b32_e32 v7, 2, v5
	ds_read_b32 v28, v7 offset:19460
	v_add_u32_e32 v7, 1, v5
.LBB29_79:
	s_or_b64 exec, exec, s[2:3]
	v_cmp_ge_i32_e32 vcc, v26, v6
	v_mov_b32_e32 v8, v6
	v_mov_b32_e32 v9, v3
	s_and_saveexec_b64 s[2:3], vcc
	s_cbranch_execz .LBB29_81
; %bb.80:
	v_lshlrev_b32_e32 v8, 2, v3
	ds_read_b32 v8, v8 offset:19460
	v_add_u32_e32 v9, 1, v3
.LBB29_81:
	s_or_b64 exec, exec, s[2:3]
	s_waitcnt lgkmcnt(0)
	v_cmp_ge_i32_e32 vcc, v8, v28
	v_mov_b32_e32 v29, v28
	v_mov_b32_e32 v10, v7
	s_and_saveexec_b64 s[2:3], vcc
	s_cbranch_execz .LBB29_83
; %bb.82:
	v_lshlrev_b32_e32 v10, 2, v7
	ds_read_b32 v29, v10 offset:19460
	v_add_u32_e32 v10, 1, v7
.LBB29_83:
	s_or_b64 exec, exec, s[2:3]
	v_cmp_ge_i32_e32 vcc, v28, v8
	v_mov_b32_e32 v11, v8
	v_mov_b32_e32 v12, v9
	s_and_saveexec_b64 s[2:3], vcc
	s_cbranch_execz .LBB29_85
; %bb.84:
	v_lshlrev_b32_e32 v11, 2, v9
	ds_read_b32 v11, v11 offset:19460
	v_add_u32_e32 v12, 1, v9
.LBB29_85:
	;; [unrolled: 23-line block ×14, first 2 shown]
	s_or_b64 exec, exec, s[2:3]
	v_cmp_ge_i32_sdwa s[4:5], v70, sext(v2) src0_sel:DWORD src1_sel:WORD_1
	v_add_u32_sdwa v70, v2, v19 dst_sel:DWORD dst_unused:UNUSED_PAD src0_sel:WORD_0 src1_sel:DWORD
	v_cmp_ge_i32_e64 s[2:3], v71, v70
	s_waitcnt lgkmcnt(0)
	v_cmp_ne_u32_e32 vcc, v72, v41
	s_or_b64 s[2:3], s[4:5], s[2:3]
	v_mov_b32_e32 v71, 0x8000
	s_or_b64 s[2:3], vcc, s[2:3]
	v_cndmask_b32_e64 v71, v71, 0, s[2:3]
	v_cmp_ge_i32_sdwa s[4:5], v67, sext(v2) src0_sel:DWORD src1_sel:WORD_1
	v_cmp_ge_i32_e64 s[2:3], v69, v70
	v_cmp_ne_u32_e32 vcc, v68, v40
	s_or_b64 s[2:3], s[4:5], s[2:3]
	v_mov_b32_e32 v67, 0x4000
	s_or_b64 s[2:3], vcc, s[2:3]
	v_cndmask_b32_e64 v67, v67, 0, s[2:3]
	v_cmp_ge_i32_sdwa s[4:5], v64, sext(v2) src0_sel:DWORD src1_sel:WORD_1
	v_cmp_ge_i32_e64 s[2:3], v66, v70
	;; [unrolled: 7-line block ×9, first 2 shown]
	v_cmp_ne_u32_e32 vcc, v44, v32
	s_or_b64 s[2:3], s[4:5], s[2:3]
	s_or_b64 s[2:3], vcc, s[2:3]
	v_cndmask_b32_e64 v43, 64, 0, s[2:3]
	v_cmp_ge_i32_sdwa s[4:5], v16, sext(v2) src0_sel:DWORD src1_sel:WORD_1
	v_cmp_ge_i32_e64 s[2:3], v42, v70
	v_cmp_ne_u32_e32 vcc, v17, v31
	s_or_b64 s[2:3], s[4:5], s[2:3]
	s_or_b64 s[8:9], vcc, s[2:3]
	v_cmp_ge_i32_sdwa s[6:7], v13, sext(v2) src0_sel:DWORD src1_sel:WORD_1
	v_cmp_ge_i32_e64 s[2:3], v15, v70
	v_cmp_ne_u32_e32 vcc, v14, v30
	s_or_b64 s[2:3], s[6:7], s[2:3]
	s_or_b64 s[16:17], vcc, s[2:3]
	;; [unrolled: 5-line block ×5, first 2 shown]
	v_cmp_gt_i32_sdwa s[2:3], sext(v2), v0 src0_sel:WORD_1 src1_sel:DWORD
	v_cmp_gt_i32_sdwa s[6:7], v2, v1 src0_sel:WORD_0 src1_sel:DWORD
	v_cmp_eq_u32_e32 vcc, v4, v27
	s_and_b64 s[2:3], s[2:3], s[6:7]
	s_and_b64 s[22:23], s[2:3], vcc
	v_cndmask_b32_e64 v7, 4, 0, s[20:21]
	v_cndmask_b32_e64 v3, 2, 0, s[24:25]
	;; [unrolled: 1-line block ×5, first 2 shown]
	v_or3_b32 v0, v3, v0, v7
	v_cndmask_b32_e64 v16, 32, 0, s[8:9]
	v_or3_b32 v0, v0, v10, v13
	v_or3_b32 v47, v0, v16, v43
	v_or_b32_e32 v46, v46, v47
	v_or3_b32 v45, v49, v52, v46
	v_or3_b32 v44, v55, v58, v45
	;; [unrolled: 1-line block ×4, first 2 shown]
	s_mov_b64 s[4:5], -1
	v_bcnt_u32_b32 v8, v42, 0
	s_cmp_lg_u32 s14, 0
	v_mov_b32_e32 v9, 0
	s_barrier
	s_cbranch_scc0 .LBB29_162
; %bb.134:
	v_mov_b32_dpp v1, v8 row_shr:1 row_mask:0xf bank_mask:0xf
	v_mbcnt_lo_u32_b32 v0, -1, 0
	v_add_co_u32_e32 v1, vcc, v1, v8
	v_mbcnt_hi_u32_b32 v16, -1, v0
	v_mov_b32_dpp v2, v9 row_shr:1 row_mask:0xf bank_mask:0xf
	v_addc_co_u32_e64 v3, s[2:3], 0, 0, vcc
	v_add_co_u32_e32 v4, vcc, 0, v1
	v_and_b32_e32 v0, 15, v16
	v_addc_co_u32_e32 v2, vcc, v2, v3, vcc
	v_cmp_eq_u32_e32 vcc, 0, v0
	v_cndmask_b32_e32 v1, v1, v8, vcc
	v_cndmask_b32_e64 v2, v2, 0, vcc
	v_cndmask_b32_e32 v3, v4, v8, vcc
	v_mov_b32_dpp v4, v1 row_shr:2 row_mask:0xf bank_mask:0xf
	v_mov_b32_dpp v5, v2 row_shr:2 row_mask:0xf bank_mask:0xf
	v_add_co_u32_e32 v4, vcc, v4, v3
	v_addc_co_u32_e32 v5, vcc, v5, v2, vcc
	v_cmp_lt_u32_e32 vcc, 1, v0
	v_cndmask_b32_e32 v1, v1, v4, vcc
	v_cndmask_b32_e32 v2, v2, v5, vcc
	v_cndmask_b32_e32 v3, v3, v4, vcc
	v_mov_b32_dpp v4, v1 row_shr:4 row_mask:0xf bank_mask:0xf
	v_mov_b32_dpp v5, v2 row_shr:4 row_mask:0xf bank_mask:0xf
	v_add_co_u32_e32 v4, vcc, v4, v3
	v_addc_co_u32_e32 v5, vcc, v5, v2, vcc
	v_cmp_lt_u32_e32 vcc, 3, v0
	v_cndmask_b32_e32 v1, v1, v4, vcc
	v_cndmask_b32_e32 v2, v2, v5, vcc
	;; [unrolled: 8-line block ×3, first 2 shown]
	v_cndmask_b32_e32 v2, v4, v6, vcc
	v_mov_b32_dpp v1, v0 row_bcast:15 row_mask:0xf bank_mask:0xf
	v_mov_b32_dpp v5, v3 row_bcast:15 row_mask:0xf bank_mask:0xf
	v_add_co_u32_e32 v4, vcc, v1, v2
	v_and_b32_e32 v7, 16, v16
	v_addc_co_u32_e32 v6, vcc, v5, v3, vcc
	v_cmp_eq_u32_e32 vcc, 0, v7
	v_cndmask_b32_e32 v1, v6, v3, vcc
	v_cndmask_b32_e32 v0, v4, v0, vcc
	v_cmp_eq_u32_e64 s[2:3], 0, v16
	v_mov_b32_dpp v7, v1 row_bcast:31 row_mask:0xf bank_mask:0xf
	v_mov_b32_dpp v5, v0 row_bcast:31 row_mask:0xf bank_mask:0xf
	v_cmp_ne_u32_e64 s[4:5], 0, v16
	v_pk_mov_b32 v[0:1], v[8:9], v[8:9] op_sel:[0,1]
	s_and_saveexec_b64 s[6:7], s[4:5]
; %bb.135:
	v_cndmask_b32_e32 v1, v6, v3, vcc
	v_cndmask_b32_e32 v0, v4, v2, vcc
	v_cmp_lt_u32_e32 vcc, 31, v16
	v_cndmask_b32_e32 v3, 0, v5, vcc
	v_cndmask_b32_e32 v2, 0, v7, vcc
	v_add_co_u32_e32 v0, vcc, v3, v0
	v_addc_co_u32_e32 v1, vcc, v2, v1, vcc
; %bb.136:
	s_or_b64 exec, exec, s[6:7]
	v_and_b32_e32 v3, 0x3c0, v18
	v_min_u32_e32 v3, 0xc0, v3
	v_lshrrev_b32_e32 v2, 6, v18
	v_or_b32_e32 v3, 63, v3
	v_cmp_eq_u32_e32 vcc, v3, v18
	v_lshlrev_b32_e32 v2, 3, v2
	s_and_saveexec_b64 s[4:5], vcc
	s_cbranch_execz .LBB29_138
; %bb.137:
	ds_write_b64 v2, v[0:1] offset:18432
.LBB29_138:
	s_or_b64 exec, exec, s[4:5]
	v_cmp_gt_u32_e32 vcc, 4, v18
	s_waitcnt lgkmcnt(0)
	s_barrier
	s_and_saveexec_b64 s[6:7], vcc
	s_cbranch_execz .LBB29_140
; %bb.139:
	v_lshlrev_b32_e32 v1, 3, v18
	ds_read_b64 v[4:5], v1 offset:18432
	v_and_b32_e32 v3, 3, v16
	v_cmp_ne_u32_e64 s[4:5], 1, v3
	s_waitcnt lgkmcnt(0)
	v_mov_b32_dpp v6, v4 row_shr:1 row_mask:0xf bank_mask:0xf
	v_add_co_u32_e32 v6, vcc, v4, v6
	v_addc_co_u32_e32 v10, vcc, 0, v5, vcc
	v_mov_b32_dpp v7, v5 row_shr:1 row_mask:0xf bank_mask:0xf
	v_add_co_u32_e32 v11, vcc, 0, v6
	v_addc_co_u32_e32 v7, vcc, v7, v10, vcc
	v_cmp_eq_u32_e32 vcc, 0, v3
	v_cndmask_b32_e32 v6, v6, v4, vcc
	v_cndmask_b32_e32 v10, v7, v5, vcc
	s_nop 0
	v_mov_b32_dpp v6, v6 row_shr:2 row_mask:0xf bank_mask:0xf
	v_mov_b32_dpp v10, v10 row_shr:2 row_mask:0xf bank_mask:0xf
	v_cndmask_b32_e64 v3, 0, v6, s[4:5]
	v_cndmask_b32_e64 v6, 0, v10, s[4:5]
	v_add_co_u32_e64 v3, s[4:5], v3, v11
	v_addc_co_u32_e64 v6, s[4:5], v6, v7, s[4:5]
	v_cndmask_b32_e32 v5, v6, v5, vcc
	v_cndmask_b32_e32 v4, v3, v4, vcc
	ds_write_b64 v1, v[4:5] offset:18432
.LBB29_140:
	s_or_b64 exec, exec, s[6:7]
	v_cmp_gt_u32_e32 vcc, 64, v18
	v_cmp_lt_u32_e64 s[4:5], 63, v18
	s_waitcnt lgkmcnt(0)
	s_barrier
	s_waitcnt lgkmcnt(0)
                                        ; implicit-def: $vgpr10_vgpr11
	s_and_saveexec_b64 s[6:7], s[4:5]
	s_cbranch_execz .LBB29_142
; %bb.141:
	ds_read_b64 v[10:11], v2 offset:18424
	s_waitcnt lgkmcnt(0)
	v_add_co_u32_e64 v0, s[4:5], v10, v0
.LBB29_142:
	s_or_b64 exec, exec, s[6:7]
	v_add_u32_e32 v1, -1, v16
	v_and_b32_e32 v2, 64, v16
	v_cmp_lt_i32_e64 s[4:5], v1, v2
	v_cndmask_b32_e64 v1, v1, v16, s[4:5]
	v_lshlrev_b32_e32 v1, 2, v1
	ds_bpermute_b32 v11, v1, v0
	s_and_saveexec_b64 s[26:27], vcc
	s_cbranch_execz .LBB29_161
; %bb.143:
	v_mov_b32_e32 v3, 0
	ds_read_b64 v[0:1], v3 offset:18456
	s_and_saveexec_b64 s[4:5], s[2:3]
	s_cbranch_execz .LBB29_145
; %bb.144:
	s_add_i32 s6, s14, 64
	s_mov_b32 s7, 0
	s_lshl_b64 s[6:7], s[6:7], 4
	s_add_u32 s6, s12, s6
	s_addc_u32 s7, s13, s7
	v_mov_b32_e32 v2, 1
	v_pk_mov_b32 v[4:5], s[6:7], s[6:7] op_sel:[0,1]
	s_waitcnt lgkmcnt(0)
	;;#ASMSTART
	global_store_dwordx4 v[4:5], v[0:3] off	
s_waitcnt vmcnt(0)
	;;#ASMEND
.LBB29_145:
	s_or_b64 exec, exec, s[4:5]
	v_xad_u32 v12, v16, -1, s14
	v_add_u32_e32 v2, 64, v12
	v_lshlrev_b64 v[4:5], 4, v[2:3]
	v_mov_b32_e32 v2, s13
	v_add_co_u32_e32 v14, vcc, s12, v4
	v_addc_co_u32_e32 v15, vcc, v2, v5, vcc
	;;#ASMSTART
	global_load_dwordx4 v[4:7], v[14:15] off glc	
s_waitcnt vmcnt(0)
	;;#ASMEND
	v_and_b32_e32 v2, 0xff, v5
	v_and_b32_e32 v7, 0xff00, v5
	;; [unrolled: 1-line block ×3, first 2 shown]
	v_or3_b32 v2, 0, v2, v7
	v_or3_b32 v4, v4, 0, 0
	v_and_b32_e32 v5, 0xff000000, v5
	v_or3_b32 v5, v2, v13, v5
	v_or3_b32 v4, v4, 0, 0
	v_cmp_eq_u16_sdwa s[6:7], v6, v3 src0_sel:BYTE_0 src1_sel:DWORD
	s_and_saveexec_b64 s[4:5], s[6:7]
	s_cbranch_execz .LBB29_149
; %bb.146:
	s_mov_b64 s[6:7], 0
	v_mov_b32_e32 v2, 0
.LBB29_147:                             ; =>This Inner Loop Header: Depth=1
	;;#ASMSTART
	global_load_dwordx4 v[4:7], v[14:15] off glc	
s_waitcnt vmcnt(0)
	;;#ASMEND
	v_cmp_ne_u16_sdwa s[28:29], v6, v2 src0_sel:BYTE_0 src1_sel:DWORD
	s_or_b64 s[6:7], s[28:29], s[6:7]
	s_andn2_b64 exec, exec, s[6:7]
	s_cbranch_execnz .LBB29_147
; %bb.148:
	s_or_b64 exec, exec, s[6:7]
.LBB29_149:
	s_or_b64 exec, exec, s[4:5]
	v_and_b32_e32 v49, 63, v16
	v_mov_b32_e32 v48, 2
	v_cmp_ne_u32_e32 vcc, 63, v49
	v_cmp_eq_u16_sdwa s[4:5], v6, v48 src0_sel:BYTE_0 src1_sel:DWORD
	v_lshlrev_b64 v[14:15], v16, -1
	v_addc_co_u32_e32 v7, vcc, 0, v16, vcc
	v_and_b32_e32 v2, s5, v15
	v_lshlrev_b32_e32 v50, 2, v7
	v_or_b32_e32 v2, 0x80000000, v2
	ds_bpermute_b32 v7, v50, v4
	v_and_b32_e32 v3, s4, v14
	v_ffbl_b32_e32 v2, v2
	v_add_u32_e32 v2, 32, v2
	v_ffbl_b32_e32 v3, v3
	v_min_u32_e32 v2, v3, v2
	ds_bpermute_b32 v3, v50, v5
	s_waitcnt lgkmcnt(1)
	v_add_co_u32_e32 v7, vcc, v4, v7
	v_addc_co_u32_e32 v17, vcc, 0, v5, vcc
	v_add_co_u32_e32 v52, vcc, 0, v7
	v_cmp_gt_u32_e64 s[4:5], 62, v49
	s_waitcnt lgkmcnt(0)
	v_addc_co_u32_e32 v3, vcc, v3, v17, vcc
	v_cndmask_b32_e64 v17, 0, 1, s[4:5]
	v_cmp_lt_u32_e32 vcc, v49, v2
	v_lshlrev_b32_e32 v17, 1, v17
	v_cndmask_b32_e32 v7, v4, v7, vcc
	v_add_lshl_u32 v51, v17, v16, 2
	v_cndmask_b32_e32 v3, v5, v3, vcc
	ds_bpermute_b32 v17, v51, v7
	ds_bpermute_b32 v53, v51, v3
	v_cndmask_b32_e32 v54, v4, v52, vcc
	v_add_u32_e32 v52, 2, v49
	v_cmp_gt_u32_e64 s[6:7], 60, v49
	s_waitcnt lgkmcnt(1)
	v_add_co_u32_e64 v17, s[4:5], v17, v54
	s_waitcnt lgkmcnt(0)
	v_addc_co_u32_e64 v53, s[4:5], v53, v3, s[4:5]
	v_cmp_gt_u32_e64 s[4:5], v52, v2
	v_cndmask_b32_e64 v3, v53, v3, s[4:5]
	v_cndmask_b32_e64 v53, 0, 1, s[6:7]
	v_lshlrev_b32_e32 v53, 2, v53
	v_cndmask_b32_e64 v7, v17, v7, s[4:5]
	v_add_lshl_u32 v53, v53, v16, 2
	ds_bpermute_b32 v55, v53, v7
	ds_bpermute_b32 v56, v53, v3
	v_cndmask_b32_e64 v17, v17, v54, s[4:5]
	v_add_u32_e32 v54, 4, v49
	v_cmp_gt_u32_e64 s[6:7], 56, v49
	s_waitcnt lgkmcnt(1)
	v_add_co_u32_e64 v57, s[4:5], v55, v17
	s_waitcnt lgkmcnt(0)
	v_addc_co_u32_e64 v55, s[4:5], v56, v3, s[4:5]
	v_cmp_gt_u32_e64 s[4:5], v54, v2
	v_cndmask_b32_e64 v3, v55, v3, s[4:5]
	v_cndmask_b32_e64 v55, 0, 1, s[6:7]
	v_lshlrev_b32_e32 v55, 3, v55
	v_cndmask_b32_e64 v7, v57, v7, s[4:5]
	v_add_lshl_u32 v55, v55, v16, 2
	ds_bpermute_b32 v58, v55, v7
	v_cndmask_b32_e64 v17, v57, v17, s[4:5]
	ds_bpermute_b32 v57, v55, v3
	v_add_u32_e32 v56, 8, v49
	v_cmp_gt_u32_e64 s[6:7], 48, v49
	s_waitcnt lgkmcnt(1)
	v_add_co_u32_e64 v58, s[4:5], v58, v17
	s_waitcnt lgkmcnt(0)
	v_addc_co_u32_e64 v57, s[4:5], v57, v3, s[4:5]
	v_cmp_gt_u32_e64 s[4:5], v56, v2
	v_cndmask_b32_e64 v3, v57, v3, s[4:5]
	v_cndmask_b32_e64 v57, 0, 1, s[6:7]
	v_lshlrev_b32_e32 v57, 4, v57
	v_cndmask_b32_e64 v7, v58, v7, s[4:5]
	v_add_lshl_u32 v57, v57, v16, 2
	ds_bpermute_b32 v59, v57, v7
	ds_bpermute_b32 v60, v57, v3
	v_cndmask_b32_e64 v17, v58, v17, s[4:5]
	v_cmp_gt_u32_e64 s[6:7], 32, v49
	v_add_u32_e32 v58, 16, v49
	s_waitcnt lgkmcnt(1)
	v_add_co_u32_e64 v61, s[4:5], v59, v17
	s_waitcnt lgkmcnt(0)
	v_addc_co_u32_e64 v60, s[4:5], v60, v3, s[4:5]
	v_cndmask_b32_e64 v59, 0, 1, s[6:7]
	v_cmp_gt_u32_e64 s[4:5], v58, v2
	v_lshlrev_b32_e32 v59, 5, v59
	v_cndmask_b32_e64 v7, v61, v7, s[4:5]
	v_add_lshl_u32 v59, v59, v16, 2
	v_cndmask_b32_e64 v3, v60, v3, s[4:5]
	ds_bpermute_b32 v7, v59, v7
	ds_bpermute_b32 v16, v59, v3
	v_add_u32_e32 v60, 32, v49
	v_cndmask_b32_e64 v17, v61, v17, s[4:5]
	v_cmp_le_u32_e64 s[4:5], v60, v2
	s_waitcnt lgkmcnt(1)
	v_cndmask_b32_e64 v7, 0, v7, s[4:5]
	s_waitcnt lgkmcnt(0)
	v_cndmask_b32_e64 v2, 0, v16, s[4:5]
	v_add_co_u32_e64 v7, s[4:5], v7, v17
	v_addc_co_u32_e64 v2, s[4:5], v2, v3, s[4:5]
	v_mov_b32_e32 v13, 0
	v_cndmask_b32_e32 v5, v5, v2, vcc
	v_cndmask_b32_e32 v4, v4, v7, vcc
	s_branch .LBB29_151
.LBB29_150:                             ;   in Loop: Header=BB29_151 Depth=1
	s_or_b64 exec, exec, s[4:5]
	v_cmp_eq_u16_sdwa s[4:5], v6, v48 src0_sel:BYTE_0 src1_sel:DWORD
	v_and_b32_e32 v7, s5, v15
	v_or_b32_e32 v7, 0x80000000, v7
	ds_bpermute_b32 v17, v50, v4
	v_and_b32_e32 v16, s4, v14
	v_ffbl_b32_e32 v7, v7
	v_add_u32_e32 v7, 32, v7
	v_ffbl_b32_e32 v16, v16
	v_min_u32_e32 v7, v16, v7
	ds_bpermute_b32 v16, v50, v5
	s_waitcnt lgkmcnt(1)
	v_add_co_u32_e32 v17, vcc, v4, v17
	v_addc_co_u32_e32 v61, vcc, 0, v5, vcc
	v_add_co_u32_e32 v62, vcc, 0, v17
	s_waitcnt lgkmcnt(0)
	v_addc_co_u32_e32 v16, vcc, v16, v61, vcc
	v_cmp_lt_u32_e32 vcc, v49, v7
	v_cndmask_b32_e32 v17, v4, v17, vcc
	ds_bpermute_b32 v61, v51, v17
	v_cndmask_b32_e32 v16, v5, v16, vcc
	ds_bpermute_b32 v63, v51, v16
	v_cndmask_b32_e32 v62, v4, v62, vcc
	v_subrev_u32_e32 v12, 64, v12
	s_waitcnt lgkmcnt(1)
	v_add_co_u32_e64 v61, s[4:5], v61, v62
	s_waitcnt lgkmcnt(0)
	v_addc_co_u32_e64 v63, s[4:5], v63, v16, s[4:5]
	v_cmp_gt_u32_e64 s[4:5], v52, v7
	v_cndmask_b32_e64 v17, v61, v17, s[4:5]
	ds_bpermute_b32 v64, v53, v17
	v_cndmask_b32_e64 v16, v63, v16, s[4:5]
	ds_bpermute_b32 v63, v53, v16
	v_cndmask_b32_e64 v61, v61, v62, s[4:5]
	s_waitcnt lgkmcnt(1)
	v_add_co_u32_e64 v62, s[4:5], v64, v61
	s_waitcnt lgkmcnt(0)
	v_addc_co_u32_e64 v63, s[4:5], v63, v16, s[4:5]
	v_cmp_gt_u32_e64 s[4:5], v54, v7
	v_cndmask_b32_e64 v17, v62, v17, s[4:5]
	ds_bpermute_b32 v64, v55, v17
	v_cndmask_b32_e64 v16, v63, v16, s[4:5]
	ds_bpermute_b32 v63, v55, v16
	v_cndmask_b32_e64 v61, v62, v61, s[4:5]
	;; [unrolled: 10-line block ×3, first 2 shown]
	s_waitcnt lgkmcnt(1)
	v_add_co_u32_e64 v62, s[4:5], v64, v61
	s_waitcnt lgkmcnt(0)
	v_addc_co_u32_e64 v63, s[4:5], v63, v16, s[4:5]
	v_cmp_gt_u32_e64 s[4:5], v58, v7
	v_cndmask_b32_e64 v17, v62, v17, s[4:5]
	v_cndmask_b32_e64 v16, v63, v16, s[4:5]
	ds_bpermute_b32 v17, v59, v17
	ds_bpermute_b32 v63, v59, v16
	v_cndmask_b32_e64 v61, v62, v61, s[4:5]
	v_cmp_le_u32_e64 s[4:5], v60, v7
	s_waitcnt lgkmcnt(1)
	v_cndmask_b32_e64 v17, 0, v17, s[4:5]
	s_waitcnt lgkmcnt(0)
	v_cndmask_b32_e64 v7, 0, v63, s[4:5]
	v_add_co_u32_e64 v17, s[4:5], v17, v61
	v_addc_co_u32_e64 v7, s[4:5], v7, v16, s[4:5]
	v_cndmask_b32_e32 v4, v4, v17, vcc
	v_cndmask_b32_e32 v5, v5, v7, vcc
	v_add_co_u32_e32 v4, vcc, v4, v2
	v_addc_co_u32_e32 v5, vcc, v5, v3, vcc
.LBB29_151:                             ; =>This Loop Header: Depth=1
                                        ;     Child Loop BB29_154 Depth 2
	v_cmp_ne_u16_sdwa s[4:5], v6, v48 src0_sel:BYTE_0 src1_sel:DWORD
	v_cndmask_b32_e64 v2, 0, 1, s[4:5]
	;;#ASMSTART
	;;#ASMEND
	v_cmp_ne_u32_e32 vcc, 0, v2
	s_cmp_lg_u64 vcc, exec
	v_pk_mov_b32 v[2:3], v[4:5], v[4:5] op_sel:[0,1]
	s_cbranch_scc1 .LBB29_156
; %bb.152:                              ;   in Loop: Header=BB29_151 Depth=1
	v_lshlrev_b64 v[4:5], 4, v[12:13]
	v_mov_b32_e32 v6, s13
	v_add_co_u32_e32 v16, vcc, s12, v4
	v_addc_co_u32_e32 v17, vcc, v6, v5, vcc
	;;#ASMSTART
	global_load_dwordx4 v[4:7], v[16:17] off glc	
s_waitcnt vmcnt(0)
	;;#ASMEND
	v_and_b32_e32 v7, 0xff, v5
	v_and_b32_e32 v61, 0xff00, v5
	;; [unrolled: 1-line block ×3, first 2 shown]
	v_or3_b32 v7, 0, v7, v61
	v_or3_b32 v4, v4, 0, 0
	v_and_b32_e32 v5, 0xff000000, v5
	v_or3_b32 v5, v7, v62, v5
	v_or3_b32 v4, v4, 0, 0
	v_cmp_eq_u16_sdwa s[6:7], v6, v13 src0_sel:BYTE_0 src1_sel:DWORD
	s_and_saveexec_b64 s[4:5], s[6:7]
	s_cbranch_execz .LBB29_150
; %bb.153:                              ;   in Loop: Header=BB29_151 Depth=1
	s_mov_b64 s[6:7], 0
.LBB29_154:                             ;   Parent Loop BB29_151 Depth=1
                                        ; =>  This Inner Loop Header: Depth=2
	;;#ASMSTART
	global_load_dwordx4 v[4:7], v[16:17] off glc	
s_waitcnt vmcnt(0)
	;;#ASMEND
	v_cmp_ne_u16_sdwa s[28:29], v6, v13 src0_sel:BYTE_0 src1_sel:DWORD
	s_or_b64 s[6:7], s[28:29], s[6:7]
	s_andn2_b64 exec, exec, s[6:7]
	s_cbranch_execnz .LBB29_154
; %bb.155:                              ;   in Loop: Header=BB29_151 Depth=1
	s_or_b64 exec, exec, s[6:7]
	s_branch .LBB29_150
.LBB29_156:                             ;   in Loop: Header=BB29_151 Depth=1
                                        ; implicit-def: $vgpr4_vgpr5
                                        ; implicit-def: $vgpr6
	s_cbranch_execz .LBB29_151
; %bb.157:
	s_and_saveexec_b64 s[4:5], s[2:3]
	s_cbranch_execz .LBB29_159
; %bb.158:
	s_add_i32 s6, s14, 64
	s_mov_b32 s7, 0
	s_lshl_b64 s[6:7], s[6:7], 4
	s_add_u32 s6, s12, s6
	v_add_co_u32_e32 v4, vcc, v2, v0
	s_addc_u32 s7, s13, s7
	v_addc_co_u32_e32 v5, vcc, v3, v1, vcc
	v_mov_b32_e32 v6, 2
	v_mov_b32_e32 v7, 0
	v_pk_mov_b32 v[12:13], s[6:7], s[6:7] op_sel:[0,1]
	;;#ASMSTART
	global_store_dwordx4 v[12:13], v[4:7] off	
s_waitcnt vmcnt(0)
	;;#ASMEND
	ds_write_b128 v7, v[0:3] offset:18464
.LBB29_159:
	s_or_b64 exec, exec, s[4:5]
	s_and_b64 exec, exec, s[0:1]
	s_cbranch_execz .LBB29_161
; %bb.160:
	v_mov_b32_e32 v0, 0
	ds_write_b64 v0, v[2:3] offset:18456
.LBB29_161:
	s_or_b64 exec, exec, s[26:27]
	v_mov_b32_e32 v0, 0
	s_waitcnt lgkmcnt(0)
	v_cndmask_b32_e64 v1, v11, v10, s[2:3]
	s_barrier
	ds_read_b64 v[2:3], v0 offset:18456
	s_waitcnt lgkmcnt(0)
	v_cndmask_b32_e64 v3, v1, 0, s[0:1]
	s_barrier
	ds_read_b64 v[0:1], v0 offset:18472
	v_add_co_u32_e32 v4, vcc, v2, v3
	s_movk_i32 s15, 0x4820
	s_branch .LBB29_172
.LBB29_162:
                                        ; implicit-def: $vgpr0_vgpr1
                                        ; implicit-def: $sgpr15
                                        ; implicit-def: $vgpr4_vgpr5
	s_and_b64 vcc, exec, s[4:5]
	s_cbranch_vccz .LBB29_172
; %bb.163:
	v_mov_b32_dpp v2, v8 row_shr:1 row_mask:0xf bank_mask:0xf
	s_waitcnt lgkmcnt(0)
	v_mov_b32_e32 v0, 0
	v_mbcnt_lo_u32_b32 v1, -1, 0
	v_add_co_u32_e32 v2, vcc, v2, v8
	v_mbcnt_hi_u32_b32 v4, -1, v1
	v_mov_b32_dpp v0, v0 row_shr:1 row_mask:0xf bank_mask:0xf
	v_addc_co_u32_e64 v3, s[2:3], 0, 0, vcc
	v_add_co_u32_e32 v5, vcc, 0, v2
	v_and_b32_e32 v1, 15, v4
	v_addc_co_u32_e32 v0, vcc, v0, v3, vcc
	v_cmp_eq_u32_e32 vcc, 0, v1
	v_cndmask_b32_e32 v2, v2, v8, vcc
	v_cndmask_b32_e64 v0, v0, 0, vcc
	v_cndmask_b32_e32 v3, v5, v8, vcc
	v_mov_b32_dpp v5, v2 row_shr:2 row_mask:0xf bank_mask:0xf
	v_mov_b32_dpp v6, v0 row_shr:2 row_mask:0xf bank_mask:0xf
	v_add_co_u32_e32 v5, vcc, v5, v3
	v_addc_co_u32_e32 v6, vcc, v6, v0, vcc
	v_cmp_lt_u32_e32 vcc, 1, v1
	v_cndmask_b32_e32 v2, v2, v5, vcc
	v_cndmask_b32_e32 v0, v0, v6, vcc
	v_cndmask_b32_e32 v3, v3, v5, vcc
	v_mov_b32_dpp v5, v2 row_shr:4 row_mask:0xf bank_mask:0xf
	v_mov_b32_dpp v6, v0 row_shr:4 row_mask:0xf bank_mask:0xf
	v_add_co_u32_e32 v5, vcc, v5, v3
	v_addc_co_u32_e32 v6, vcc, v6, v0, vcc
	v_cmp_lt_u32_e32 vcc, 3, v1
	v_cndmask_b32_e32 v2, v2, v5, vcc
	v_cndmask_b32_e32 v0, v0, v6, vcc
	;; [unrolled: 8-line block ×3, first 2 shown]
	v_cndmask_b32_e32 v0, v3, v5, vcc
	v_mov_b32_dpp v3, v1 row_bcast:15 row_mask:0xf bank_mask:0xf
	v_mov_b32_dpp v2, v6 row_bcast:15 row_mask:0xf bank_mask:0xf
	v_and_b32_e32 v7, 16, v4
	v_add_co_u32_e32 v2, vcc, v2, v0
	v_addc_co_u32_e32 v5, vcc, v3, v1, vcc
	v_cmp_eq_u32_e64 s[2:3], 0, v7
	v_cndmask_b32_e64 v7, v5, v1, s[2:3]
	v_cndmask_b32_e64 v3, v2, v6, s[2:3]
	v_cmp_eq_u32_e32 vcc, 0, v4
	v_mov_b32_dpp v6, v7 row_bcast:31 row_mask:0xf bank_mask:0xf
	v_mov_b32_dpp v3, v3 row_bcast:31 row_mask:0xf bank_mask:0xf
	v_cmp_ne_u32_e64 s[4:5], 0, v4
	s_and_saveexec_b64 s[6:7], s[4:5]
; %bb.164:
	v_cndmask_b32_e64 v1, v5, v1, s[2:3]
	v_cndmask_b32_e64 v0, v2, v0, s[2:3]
	v_cmp_lt_u32_e64 s[2:3], 31, v4
	v_cndmask_b32_e64 v3, 0, v3, s[2:3]
	v_cndmask_b32_e64 v2, 0, v6, s[2:3]
	v_add_co_u32_e64 v8, s[2:3], v3, v0
	v_addc_co_u32_e64 v9, s[2:3], v2, v1, s[2:3]
; %bb.165:
	s_or_b64 exec, exec, s[6:7]
	v_and_b32_e32 v1, 0x3c0, v18
	v_min_u32_e32 v1, 0xc0, v1
	v_lshrrev_b32_e32 v0, 6, v18
	v_or_b32_e32 v1, 63, v1
	v_cmp_eq_u32_e64 s[2:3], v1, v18
	v_lshlrev_b32_e32 v5, 3, v0
	s_and_saveexec_b64 s[4:5], s[2:3]
	s_cbranch_execz .LBB29_167
; %bb.166:
	ds_write_b64 v5, v[8:9] offset:18432
.LBB29_167:
	s_or_b64 exec, exec, s[4:5]
	v_cmp_gt_u32_e64 s[2:3], 4, v18
	s_waitcnt lgkmcnt(0)
	s_barrier
	s_and_saveexec_b64 s[6:7], s[2:3]
	s_cbranch_execz .LBB29_169
; %bb.168:
	v_lshl_add_u32 v2, v18, 2, v25
	ds_read_b64 v[0:1], v2
	v_and_b32_e32 v3, 3, v4
	v_cmp_ne_u32_e64 s[4:5], 1, v3
	s_waitcnt lgkmcnt(0)
	v_mov_b32_dpp v6, v0 row_shr:1 row_mask:0xf bank_mask:0xf
	v_add_co_u32_e64 v6, s[2:3], v0, v6
	v_addc_co_u32_e64 v9, s[2:3], 0, v1, s[2:3]
	v_mov_b32_dpp v7, v1 row_shr:1 row_mask:0xf bank_mask:0xf
	v_add_co_u32_e64 v10, s[2:3], 0, v6
	v_addc_co_u32_e64 v7, s[2:3], v7, v9, s[2:3]
	v_cmp_eq_u32_e64 s[2:3], 0, v3
	v_cndmask_b32_e64 v6, v6, v0, s[2:3]
	v_cndmask_b32_e64 v9, v7, v1, s[2:3]
	s_nop 0
	v_mov_b32_dpp v6, v6 row_shr:2 row_mask:0xf bank_mask:0xf
	v_mov_b32_dpp v9, v9 row_shr:2 row_mask:0xf bank_mask:0xf
	v_cndmask_b32_e64 v3, 0, v6, s[4:5]
	v_cndmask_b32_e64 v6, 0, v9, s[4:5]
	v_add_co_u32_e64 v3, s[4:5], v3, v10
	v_addc_co_u32_e64 v6, s[4:5], v6, v7, s[4:5]
	v_cndmask_b32_e64 v1, v6, v1, s[2:3]
	v_cndmask_b32_e64 v0, v3, v0, s[2:3]
	ds_write_b64 v2, v[0:1]
.LBB29_169:
	s_or_b64 exec, exec, s[6:7]
	v_pk_mov_b32 v[0:1], 0, 0
	v_cmp_lt_u32_e64 s[2:3], 63, v18
	v_pk_mov_b32 v[2:3], v[0:1], v[0:1] op_sel:[0,1]
	s_waitcnt lgkmcnt(0)
	s_barrier
	s_and_saveexec_b64 s[4:5], s[2:3]
	s_cbranch_execz .LBB29_171
; %bb.170:
	ds_read_b64 v[2:3], v5 offset:18424
.LBB29_171:
	s_or_b64 exec, exec, s[4:5]
	v_add_u32_e32 v5, -1, v4
	v_and_b32_e32 v6, 64, v4
	v_cmp_lt_i32_e64 s[2:3], v5, v6
	v_cndmask_b32_e64 v4, v5, v4, s[2:3]
	s_waitcnt lgkmcnt(0)
	v_add_u32_e32 v3, v2, v8
	v_lshlrev_b32_e32 v4, 2, v4
	ds_bpermute_b32 v3, v4, v3
	s_movk_i32 s15, 0x4818
	s_waitcnt lgkmcnt(0)
	v_cndmask_b32_e32 v4, v3, v2, vcc
.LBB29_172:
	v_mov_b32_e32 v2, s15
	ds_read_b64 v[2:3], v2
	s_xor_b64 s[2:3], s[8:9], -1
	s_xor_b64 s[4:5], s[16:17], -1
	s_xor_b64 s[6:7], s[18:19], -1
	s_xor_b64 s[8:9], s[20:21], -1
	s_xor_b64 s[16:17], s[24:25], -1
	s_waitcnt lgkmcnt(1)
	v_sub_u32_e32 v4, v4, v0
	s_waitcnt lgkmcnt(0)
	s_barrier
	s_and_saveexec_b64 s[18:19], s[22:23]
	s_cbranch_execnz .LBB29_214
; %bb.173:
	s_or_b64 exec, exec, s[18:19]
	s_and_saveexec_b64 s[18:19], s[16:17]
	s_cbranch_execnz .LBB29_215
.LBB29_174:
	s_or_b64 exec, exec, s[18:19]
	s_and_saveexec_b64 s[16:17], s[8:9]
	s_cbranch_execnz .LBB29_216
.LBB29_175:
	s_or_b64 exec, exec, s[16:17]
	s_and_saveexec_b64 s[8:9], s[6:7]
	s_cbranch_execnz .LBB29_217
.LBB29_176:
	s_or_b64 exec, exec, s[8:9]
	s_and_saveexec_b64 s[6:7], s[4:5]
	s_cbranch_execnz .LBB29_218
.LBB29_177:
	s_or_b64 exec, exec, s[6:7]
	s_and_saveexec_b64 s[4:5], s[2:3]
	s_cbranch_execz .LBB29_179
.LBB29_178:
	v_lshlrev_b32_e32 v5, 2, v4
	v_add_u32_e32 v4, 1, v4
	ds_write_b32 v5, v31 offset:19456
.LBB29_179:
	s_or_b64 exec, exec, s[4:5]
	v_and_b32_e32 v5, 64, v47
	v_cmp_ne_u32_e32 vcc, 0, v5
	s_and_saveexec_b64 s[2:3], vcc
	s_cbranch_execz .LBB29_181
; %bb.180:
	v_lshlrev_b32_e32 v5, 2, v4
	v_add_u32_e32 v4, 1, v4
	ds_write_b32 v5, v32 offset:19456
.LBB29_181:
	s_or_b64 exec, exec, s[2:3]
	v_and_b32_e32 v5, 0x80, v46
	v_cmp_ne_u32_e32 vcc, 0, v5
	s_and_saveexec_b64 s[2:3], vcc
	s_cbranch_execz .LBB29_183
; %bb.182:
	v_lshlrev_b32_e32 v5, 2, v4
	v_add_u32_e32 v4, 1, v4
	ds_write_b32 v5, v33 offset:19456
.LBB29_183:
	;; [unrolled: 10-line block ×9, first 2 shown]
	s_or_b64 exec, exec, s[2:3]
	v_and_b32_e32 v5, 0x8000, v42
	v_cmp_ne_u32_e32 vcc, 0, v5
	s_and_saveexec_b64 s[2:3], vcc
	s_cbranch_execz .LBB29_199
; %bb.198:
	v_lshlrev_b32_e32 v4, 2, v4
	ds_write_b32 v4, v41 offset:19456
.LBB29_199:
	s_or_b64 exec, exec, s[2:3]
	s_waitcnt lgkmcnt(0)
	s_barrier
	s_and_saveexec_b64 s[2:3], s[0:1]
	s_cbranch_execz .LBB29_201
; %bb.200:
	v_add_co_u32_e32 v0, vcc, v2, v0
	v_mov_b32_e32 v4, 0
	v_addc_co_u32_e32 v1, vcc, v3, v1, vcc
	global_store_dwordx2 v4, v[0:1], s[10:11]
.LBB29_201:
	s_or_b64 exec, exec, s[2:3]
	s_branch .LBB29_6
.LBB29_202:
	v_lshlrev_b32_e32 v25, 2, v18
	v_sub_u32_e32 v4, v18, v19
	v_add_co_u32_e32 v2, vcc, v23, v25
	v_ashrrev_i32_e32 v5, 31, v4
	v_addc_co_u32_e32 v1, vcc, 0, v24, vcc
	v_lshlrev_b64 v[4:5], 2, v[4:5]
	v_add_co_u32_e32 v0, vcc, v21, v4
	v_addc_co_u32_e32 v3, vcc, v22, v5, vcc
	v_cmp_lt_i32_e32 vcc, v18, v19
	v_cndmask_b32_e32 v5, v3, v1, vcc
	v_cndmask_b32_e32 v4, v0, v2, vcc
	global_load_dword v0, v[4:5], off
	v_ashrrev_i32_e32 v5, 31, v19
	v_sub_co_u32_e32 v4, vcc, v18, v19
	v_subb_co_u32_e32 v5, vcc, 0, v5, vcc
	v_lshlrev_b64 v[4:5], 2, v[4:5]
	v_add_co_u32_e32 v6, vcc, v21, v4
	v_add_u32_e32 v3, 0x100, v18
	v_addc_co_u32_e32 v7, vcc, v22, v5, vcc
	v_cmp_lt_i32_e32 vcc, v3, v19
	v_cndmask_b32_e32 v5, v7, v1, vcc
	v_cndmask_b32_e32 v4, v6, v2, vcc
	global_load_dword v3, v[4:5], off offset:1024
	v_add_u32_e32 v4, 0x200, v18
	v_cmp_lt_i32_e32 vcc, v4, v19
	v_cndmask_b32_e32 v5, v7, v1, vcc
	v_cndmask_b32_e32 v4, v6, v2, vcc
	global_load_dword v4, v[4:5], off offset:2048
	v_add_u32_e32 v5, 0x300, v18
	v_cmp_lt_i32_e32 vcc, v5, v19
	v_cndmask_b32_e32 v7, v7, v1, vcc
	v_cndmask_b32_e32 v6, v6, v2, vcc
	v_or_b32_e32 v8, 0x400, v18
	global_load_dword v5, v[6:7], off offset:3072
	v_lshlrev_b32_e32 v6, 2, v8
	v_add_co_u32_e32 v9, vcc, v23, v6
	v_sub_u32_e32 v6, v8, v19
	v_ashrrev_i32_e32 v7, 31, v6
	v_addc_co_u32_e32 v10, vcc, 0, v24, vcc
	v_lshlrev_b64 v[6:7], 2, v[6:7]
	v_add_co_u32_e32 v6, vcc, v21, v6
	v_addc_co_u32_e32 v7, vcc, v22, v7, vcc
	v_cmp_lt_i32_e32 vcc, v8, v19
	v_cndmask_b32_e32 v7, v7, v10, vcc
	v_cndmask_b32_e32 v6, v6, v9, vcc
	global_load_dword v6, v[6:7], off
	v_add_u32_e32 v7, 0x500, v18
	s_movk_i32 s0, 0x1400
	v_sub_u32_e32 v8, v7, v19
	v_add_co_u32_e32 v10, vcc, s0, v2
	v_ashrrev_i32_e32 v9, 31, v8
	v_addc_co_u32_e32 v11, vcc, 0, v1, vcc
	v_lshlrev_b64 v[8:9], 2, v[8:9]
	v_add_co_u32_e32 v8, vcc, v21, v8
	v_addc_co_u32_e32 v9, vcc, v22, v9, vcc
	v_cmp_lt_i32_e32 vcc, v7, v19
	v_cndmask_b32_e32 v9, v9, v11, vcc
	v_cndmask_b32_e32 v8, v8, v10, vcc
	v_add_u32_e32 v10, 0x600, v18
	global_load_dword v7, v[8:9], off
	s_movk_i32 s0, 0x1800
	v_sub_u32_e32 v8, v10, v19
	v_add_co_u32_e32 v11, vcc, s0, v2
	v_ashrrev_i32_e32 v9, 31, v8
	v_addc_co_u32_e32 v12, vcc, 0, v1, vcc
	v_lshlrev_b64 v[8:9], 2, v[8:9]
	v_add_co_u32_e32 v8, vcc, v21, v8
	v_addc_co_u32_e32 v9, vcc, v22, v9, vcc
	v_cmp_lt_i32_e32 vcc, v10, v19
	v_cndmask_b32_e32 v9, v9, v12, vcc
	v_cndmask_b32_e32 v8, v8, v11, vcc
	global_load_dword v8, v[8:9], off
	v_add_u32_e32 v9, 0x700, v18
	s_movk_i32 s0, 0x1c00
	v_sub_u32_e32 v10, v9, v19
	v_add_co_u32_e32 v12, vcc, s0, v2
	v_ashrrev_i32_e32 v11, 31, v10
	v_addc_co_u32_e32 v13, vcc, 0, v1, vcc
	v_lshlrev_b64 v[10:11], 2, v[10:11]
	v_add_co_u32_e32 v10, vcc, v21, v10
	v_addc_co_u32_e32 v11, vcc, v22, v11, vcc
	v_cmp_lt_i32_e32 vcc, v9, v19
	v_cndmask_b32_e32 v11, v11, v13, vcc
	v_cndmask_b32_e32 v10, v10, v12, vcc
	v_or_b32_e32 v12, 0x800, v18
	global_load_dword v9, v[10:11], off
	v_lshlrev_b32_e32 v10, 2, v12
	v_add_co_u32_e32 v13, vcc, v23, v10
	v_sub_u32_e32 v10, v12, v19
	v_ashrrev_i32_e32 v11, 31, v10
	v_addc_co_u32_e32 v14, vcc, 0, v24, vcc
	v_lshlrev_b64 v[10:11], 2, v[10:11]
	v_add_co_u32_e32 v10, vcc, v21, v10
	v_addc_co_u32_e32 v11, vcc, v22, v11, vcc
	v_cmp_lt_i32_e32 vcc, v12, v19
	v_cndmask_b32_e32 v11, v11, v14, vcc
	v_cndmask_b32_e32 v10, v10, v13, vcc
	global_load_dword v10, v[10:11], off
	v_add_u32_e32 v11, 0x900, v18
	s_movk_i32 s0, 0x2400
	v_sub_u32_e32 v12, v11, v19
	v_add_co_u32_e32 v14, vcc, s0, v2
	v_ashrrev_i32_e32 v13, 31, v12
	v_addc_co_u32_e32 v15, vcc, 0, v1, vcc
	v_lshlrev_b64 v[12:13], 2, v[12:13]
	v_add_co_u32_e32 v12, vcc, v21, v12
	v_addc_co_u32_e32 v13, vcc, v22, v13, vcc
	v_cmp_lt_i32_e32 vcc, v11, v19
	v_cndmask_b32_e32 v13, v13, v15, vcc
	v_cndmask_b32_e32 v12, v12, v14, vcc
	v_add_u32_e32 v14, 0xa00, v18
	global_load_dword v11, v[12:13], off
	s_movk_i32 s0, 0x2800
	v_sub_u32_e32 v12, v14, v19
	v_add_co_u32_e32 v15, vcc, s0, v2
	v_ashrrev_i32_e32 v13, 31, v12
	v_addc_co_u32_e32 v16, vcc, 0, v1, vcc
	v_lshlrev_b64 v[12:13], 2, v[12:13]
	v_add_co_u32_e32 v12, vcc, v21, v12
	v_addc_co_u32_e32 v13, vcc, v22, v13, vcc
	v_cmp_lt_i32_e32 vcc, v14, v19
	v_cndmask_b32_e32 v13, v13, v16, vcc
	v_cndmask_b32_e32 v12, v12, v15, vcc
	global_load_dword v12, v[12:13], off
	v_add_u32_e32 v13, 0xb00, v18
	s_movk_i32 s0, 0x2c00
	v_sub_u32_e32 v14, v13, v19
	v_add_co_u32_e32 v16, vcc, s0, v2
	v_ashrrev_i32_e32 v15, 31, v14
	v_addc_co_u32_e32 v17, vcc, 0, v1, vcc
	v_lshlrev_b64 v[14:15], 2, v[14:15]
	v_add_co_u32_e32 v14, vcc, v21, v14
	v_addc_co_u32_e32 v15, vcc, v22, v15, vcc
	v_cmp_lt_i32_e32 vcc, v13, v19
	v_cndmask_b32_e32 v15, v15, v17, vcc
	v_cndmask_b32_e32 v14, v14, v16, vcc
	v_or_b32_e32 v16, 0xc00, v18
	global_load_dword v13, v[14:15], off
	v_lshlrev_b32_e32 v14, 2, v16
	v_add_co_u32_e32 v17, vcc, v23, v14
	v_sub_u32_e32 v14, v16, v19
	v_ashrrev_i32_e32 v15, 31, v14
	v_addc_co_u32_e32 v23, vcc, 0, v24, vcc
	v_lshlrev_b64 v[14:15], 2, v[14:15]
	v_add_co_u32_e32 v14, vcc, v21, v14
	v_addc_co_u32_e32 v15, vcc, v22, v15, vcc
	v_cmp_lt_i32_e32 vcc, v16, v19
	v_cndmask_b32_e32 v15, v15, v23, vcc
	v_cndmask_b32_e32 v14, v14, v17, vcc
	global_load_dword v14, v[14:15], off
	v_add_u32_e32 v15, 0xd00, v18
	s_movk_i32 s0, 0x3400
	v_sub_u32_e32 v16, v15, v19
	v_add_co_u32_e32 v23, vcc, s0, v2
	v_ashrrev_i32_e32 v17, 31, v16
	v_addc_co_u32_e32 v24, vcc, 0, v1, vcc
	v_lshlrev_b64 v[16:17], 2, v[16:17]
	v_add_co_u32_e32 v16, vcc, v21, v16
	v_addc_co_u32_e32 v17, vcc, v22, v17, vcc
	v_cmp_lt_i32_e32 vcc, v15, v19
	v_cndmask_b32_e32 v17, v17, v24, vcc
	v_cndmask_b32_e32 v16, v16, v23, vcc
	v_add_u32_e32 v23, 0xe00, v18
	global_load_dword v15, v[16:17], off
	s_movk_i32 s0, 0x3800
	v_sub_u32_e32 v16, v23, v19
	v_add_co_u32_e32 v24, vcc, s0, v2
	v_ashrrev_i32_e32 v17, 31, v16
	v_addc_co_u32_e32 v26, vcc, 0, v1, vcc
	v_lshlrev_b64 v[16:17], 2, v[16:17]
	v_add_co_u32_e32 v16, vcc, v21, v16
	v_addc_co_u32_e32 v17, vcc, v22, v17, vcc
	v_cmp_lt_i32_e32 vcc, v23, v19
	v_cndmask_b32_e32 v17, v17, v26, vcc
	v_cndmask_b32_e32 v16, v16, v24, vcc
	global_load_dword v17, v[16:17], off
	v_add_u32_e32 v23, 0xf00, v18
	v_add_u32_e32 v16, v20, v19
	v_cmp_lt_i32_e32 vcc, v23, v16
                                        ; implicit-def: $vgpr24
	s_and_saveexec_b64 s[0:1], vcc
	s_cbranch_execz .LBB29_204
; %bb.203:
	v_sub_u32_e32 v26, v23, v19
	v_add_co_u32_e32 v2, vcc, 0x3c00, v2
	v_ashrrev_i32_e32 v27, 31, v26
	v_addc_co_u32_e32 v1, vcc, 0, v1, vcc
	v_lshlrev_b64 v[26:27], 2, v[26:27]
	v_add_co_u32_e32 v21, vcc, v21, v26
	v_addc_co_u32_e32 v22, vcc, v22, v27, vcc
	v_cmp_lt_i32_e32 vcc, v23, v19
	v_cndmask_b32_e32 v23, v22, v1, vcc
	v_cndmask_b32_e32 v22, v21, v2, vcc
	global_load_dword v24, v[22:23], off
.LBB29_204:
	s_or_b64 exec, exec, s[0:1]
	s_waitcnt vmcnt(13)
	ds_write2st64_b32 v25, v0, v3 offset0:4 offset1:8
	s_waitcnt vmcnt(11)
	ds_write2st64_b32 v25, v4, v5 offset0:12 offset1:16
	;; [unrolled: 2-line block ×8, first 2 shown]
	v_lshlrev_b32_e32 v0, 4, v18
	v_min_i32_e32 v1, v16, v0
	v_sub_u32_e32 v0, v1, v20
	v_max_i32_e32 v0, 0, v0
	v_min_i32_e32 v3, v19, v1
	v_lshlrev_b32_e32 v2, 2, v19
	v_cmp_lt_i32_e32 vcc, v0, v3
	s_waitcnt lgkmcnt(0)
	s_barrier
	s_and_saveexec_b64 s[0:1], vcc
	s_cbranch_execz .LBB29_208
; %bb.205:
	v_lshl_add_u32 v4, v1, 2, v2
	v_add_u32_e32 v4, 0x400, v4
	s_mov_b64 s[2:3], 0
.LBB29_206:                             ; =>This Inner Loop Header: Depth=1
	v_add_u32_e32 v5, v3, v0
	v_ashrrev_i32_e32 v5, 1, v5
	v_not_b32_e32 v7, v5
	v_lshlrev_b32_e32 v6, 2, v5
	v_lshl_add_u32 v7, v7, 2, v4
	ds_read_b32 v6, v6 offset:1024
	ds_read_b32 v7, v7
	v_add_u32_e32 v8, 1, v5
	s_waitcnt lgkmcnt(0)
	v_cmp_lt_i32_e32 vcc, v7, v6
	v_cndmask_b32_e32 v3, v3, v5, vcc
	v_cndmask_b32_e32 v0, v8, v0, vcc
	v_cmp_ge_i32_e32 vcc, v0, v3
	s_or_b64 s[2:3], vcc, s[2:3]
	s_andn2_b64 exec, exec, s[2:3]
	s_cbranch_execnz .LBB29_206
; %bb.207:
	s_or_b64 exec, exec, s[2:3]
.LBB29_208:
	s_or_b64 exec, exec, s[0:1]
	v_sub_u32_e32 v5, v1, v0
	v_cmp_lt_i32_e32 vcc, v5, v20
	v_mov_b32_e32 v4, 0
	s_and_saveexec_b64 s[2:3], vcc
	s_cbranch_execz .LBB29_243
; %bb.209:
	v_lshl_add_u32 v6, v5, 2, v2
	ds_read_b32 v4, v6 offset:1024
	v_cmp_lt_i32_e32 vcc, 0, v0
	v_mov_b32_e32 v3, 0
	v_mov_b32_e32 v7, v0
	s_and_saveexec_b64 s[0:1], vcc
	s_cbranch_execnz .LBB29_219
; %bb.210:
	s_or_b64 exec, exec, s[0:1]
	v_cmp_lt_i32_e32 vcc, v3, v7
	s_and_saveexec_b64 s[0:1], vcc
	s_cbranch_execnz .LBB29_220
.LBB29_211:
	s_or_b64 exec, exec, s[0:1]
	v_cmp_lt_i32_e32 vcc, v3, v7
	s_and_saveexec_b64 s[0:1], vcc
	s_cbranch_execnz .LBB29_221
.LBB29_212:
	s_or_b64 exec, exec, s[0:1]
	v_cmp_lt_i32_e32 vcc, v3, v7
	s_and_saveexec_b64 s[0:1], vcc
	s_cbranch_execnz .LBB29_222
.LBB29_213:
	s_or_b64 exec, exec, s[0:1]
	v_cmp_lt_i32_e32 vcc, v3, v7
	s_and_saveexec_b64 s[0:1], vcc
	s_cbranch_execnz .LBB29_223
	s_branch .LBB29_226
.LBB29_214:
	v_lshlrev_b32_e32 v5, 2, v4
	v_add_u32_e32 v4, 1, v4
	ds_write_b32 v5, v27 offset:19456
	s_or_b64 exec, exec, s[18:19]
	s_and_saveexec_b64 s[18:19], s[16:17]
	s_cbranch_execz .LBB29_174
.LBB29_215:
	v_lshlrev_b32_e32 v5, 2, v4
	v_add_u32_e32 v4, 1, v4
	ds_write_b32 v5, v26 offset:19456
	s_or_b64 exec, exec, s[18:19]
	s_and_saveexec_b64 s[16:17], s[8:9]
	s_cbranch_execz .LBB29_175
.LBB29_216:
	v_lshlrev_b32_e32 v5, 2, v4
	v_add_u32_e32 v4, 1, v4
	ds_write_b32 v5, v28 offset:19456
	s_or_b64 exec, exec, s[16:17]
	s_and_saveexec_b64 s[8:9], s[6:7]
	s_cbranch_execz .LBB29_176
.LBB29_217:
	v_lshlrev_b32_e32 v5, 2, v4
	v_add_u32_e32 v4, 1, v4
	ds_write_b32 v5, v29 offset:19456
	s_or_b64 exec, exec, s[8:9]
	s_and_saveexec_b64 s[6:7], s[4:5]
	s_cbranch_execz .LBB29_177
.LBB29_218:
	v_lshlrev_b32_e32 v5, 2, v4
	v_add_u32_e32 v4, 1, v4
	ds_write_b32 v5, v30 offset:19456
	s_or_b64 exec, exec, s[6:7]
	s_and_saveexec_b64 s[4:5], s[2:3]
	s_cbranch_execnz .LBB29_178
	s_branch .LBB29_179
.LBB29_219:
	s_movk_i32 s4, 0x1ff
	v_mul_lo_u32 v3, v0, s4
	v_ashrrev_i32_e32 v7, 9, v3
	v_lshlrev_b32_e32 v3, 2, v7
	ds_read_b32 v3, v3 offset:1024
	v_add_u32_e32 v8, 1, v7
	s_waitcnt lgkmcnt(0)
	v_cmp_lt_i32_e32 vcc, v3, v4
	v_cndmask_b32_e32 v3, 0, v8, vcc
	v_cndmask_b32_e32 v7, v7, v0, vcc
	s_or_b64 exec, exec, s[0:1]
	v_cmp_lt_i32_e32 vcc, v3, v7
	s_and_saveexec_b64 s[0:1], vcc
	s_cbranch_execz .LBB29_211
.LBB29_220:
	v_sub_u32_e32 v8, v3, v7
	v_lshl_add_u32 v8, v7, 7, v8
	v_ashrrev_i32_e32 v8, 7, v8
	v_lshlrev_b32_e32 v9, 2, v8
	ds_read_b32 v9, v9 offset:1024
	v_add_u32_e32 v10, 1, v8
	s_waitcnt lgkmcnt(0)
	v_cmp_lt_i32_e32 vcc, v9, v4
	v_cndmask_b32_e32 v3, v3, v10, vcc
	v_cndmask_b32_e32 v7, v8, v7, vcc
	s_or_b64 exec, exec, s[0:1]
	v_cmp_lt_i32_e32 vcc, v3, v7
	s_and_saveexec_b64 s[0:1], vcc
	s_cbranch_execz .LBB29_212
.LBB29_221:
	v_sub_u32_e32 v8, v3, v7
	v_lshl_add_u32 v8, v7, 5, v8
	v_ashrrev_i32_e32 v8, 5, v8
	v_lshlrev_b32_e32 v9, 2, v8
	ds_read_b32 v9, v9 offset:1024
	v_add_u32_e32 v10, 1, v8
	s_waitcnt lgkmcnt(0)
	v_cmp_lt_i32_e32 vcc, v9, v4
	v_cndmask_b32_e32 v3, v3, v10, vcc
	v_cndmask_b32_e32 v7, v8, v7, vcc
	s_or_b64 exec, exec, s[0:1]
	v_cmp_lt_i32_e32 vcc, v3, v7
	s_and_saveexec_b64 s[0:1], vcc
	s_cbranch_execz .LBB29_213
.LBB29_222:
	v_sub_u32_e32 v8, v3, v7
	v_lshl_add_u32 v8, v7, 4, v8
	v_ashrrev_i32_e32 v8, 4, v8
	v_lshlrev_b32_e32 v9, 2, v8
	ds_read_b32 v9, v9 offset:1024
	v_add_u32_e32 v10, 1, v8
	s_waitcnt lgkmcnt(0)
	v_cmp_lt_i32_e32 vcc, v9, v4
	v_cndmask_b32_e32 v3, v3, v10, vcc
	v_cndmask_b32_e32 v7, v8, v7, vcc
	s_or_b64 exec, exec, s[0:1]
	v_cmp_lt_i32_e32 vcc, v3, v7
	s_and_saveexec_b64 s[0:1], vcc
	s_cbranch_execz .LBB29_226
.LBB29_223:
	s_mov_b64 s[4:5], 0
.LBB29_224:                             ; =>This Inner Loop Header: Depth=1
	v_sub_u32_e32 v8, v3, v7
	v_lshl_add_u32 v8, v7, 1, v8
	v_ashrrev_i32_e32 v8, 1, v8
	v_lshlrev_b32_e32 v9, 2, v8
	ds_read_b32 v9, v9 offset:1024
	v_add_u32_e32 v10, 1, v8
	s_waitcnt lgkmcnt(0)
	v_cmp_lt_i32_e32 vcc, v9, v4
	v_cndmask_b32_e32 v3, v3, v10, vcc
	v_cndmask_b32_e32 v7, v8, v7, vcc
	v_cmp_ge_i32_e32 vcc, v3, v7
	s_or_b64 s[4:5], vcc, s[4:5]
	s_andn2_b64 exec, exec, s[4:5]
	s_cbranch_execnz .LBB29_224
; %bb.225:
	s_or_b64 exec, exec, s[4:5]
.LBB29_226:
	s_or_b64 exec, exec, s[0:1]
	v_add_u32_e32 v6, 0x400, v6
	v_cmp_lt_i32_e32 vcc, 0, v5
	v_mov_b32_e32 v7, 0
	v_mov_b32_e32 v8, v5
	s_and_saveexec_b64 s[0:1], vcc
	s_cbranch_execnz .LBB29_231
; %bb.227:
	s_or_b64 exec, exec, s[0:1]
	v_cmp_lt_i32_e32 vcc, v7, v8
	s_and_saveexec_b64 s[0:1], vcc
	s_cbranch_execnz .LBB29_232
.LBB29_228:
	s_or_b64 exec, exec, s[0:1]
	v_cmp_lt_i32_e32 vcc, v7, v8
	s_and_saveexec_b64 s[0:1], vcc
	s_cbranch_execnz .LBB29_233
.LBB29_229:
	s_or_b64 exec, exec, s[0:1]
	v_cmp_lt_i32_e32 vcc, v7, v8
	s_and_saveexec_b64 s[0:1], vcc
	s_cbranch_execnz .LBB29_234
.LBB29_230:
	s_or_b64 exec, exec, s[0:1]
	v_cmp_lt_i32_e32 vcc, v7, v8
	s_and_saveexec_b64 s[0:1], vcc
	s_cbranch_execnz .LBB29_235
	s_branch .LBB29_238
.LBB29_231:
	s_movk_i32 s4, 0x1ff
	v_mul_lo_u32 v7, v5, s4
	v_ashrrev_i32_e32 v8, 9, v7
	v_lshl_add_u32 v7, v8, 2, v2
	ds_read_b32 v7, v7 offset:1024
	v_add_u32_e32 v9, 1, v8
	s_waitcnt lgkmcnt(0)
	v_cmp_lt_i32_e32 vcc, v7, v4
	v_cndmask_b32_e32 v7, 0, v9, vcc
	v_cndmask_b32_e32 v8, v8, v5, vcc
	s_or_b64 exec, exec, s[0:1]
	v_cmp_lt_i32_e32 vcc, v7, v8
	s_and_saveexec_b64 s[0:1], vcc
	s_cbranch_execz .LBB29_228
.LBB29_232:
	v_sub_u32_e32 v9, v7, v8
	v_lshl_add_u32 v9, v8, 7, v9
	v_ashrrev_i32_e32 v9, 7, v9
	v_lshl_add_u32 v10, v9, 2, v2
	ds_read_b32 v10, v10 offset:1024
	v_add_u32_e32 v11, 1, v9
	s_waitcnt lgkmcnt(0)
	v_cmp_lt_i32_e32 vcc, v10, v4
	v_cndmask_b32_e32 v7, v7, v11, vcc
	v_cndmask_b32_e32 v8, v9, v8, vcc
	s_or_b64 exec, exec, s[0:1]
	v_cmp_lt_i32_e32 vcc, v7, v8
	s_and_saveexec_b64 s[0:1], vcc
	s_cbranch_execz .LBB29_229
.LBB29_233:
	v_sub_u32_e32 v9, v7, v8
	v_lshl_add_u32 v9, v8, 5, v9
	v_ashrrev_i32_e32 v9, 5, v9
	v_lshl_add_u32 v10, v9, 2, v2
	ds_read_b32 v10, v10 offset:1024
	v_add_u32_e32 v11, 1, v9
	s_waitcnt lgkmcnt(0)
	v_cmp_lt_i32_e32 vcc, v10, v4
	v_cndmask_b32_e32 v7, v7, v11, vcc
	v_cndmask_b32_e32 v8, v9, v8, vcc
	s_or_b64 exec, exec, s[0:1]
	v_cmp_lt_i32_e32 vcc, v7, v8
	s_and_saveexec_b64 s[0:1], vcc
	s_cbranch_execz .LBB29_230
.LBB29_234:
	v_sub_u32_e32 v9, v7, v8
	v_lshl_add_u32 v9, v8, 4, v9
	v_ashrrev_i32_e32 v9, 4, v9
	v_lshl_add_u32 v10, v9, 2, v2
	ds_read_b32 v10, v10 offset:1024
	v_add_u32_e32 v11, 1, v9
	s_waitcnt lgkmcnt(0)
	v_cmp_lt_i32_e32 vcc, v10, v4
	v_cndmask_b32_e32 v7, v7, v11, vcc
	v_cndmask_b32_e32 v8, v9, v8, vcc
	s_or_b64 exec, exec, s[0:1]
	v_cmp_lt_i32_e32 vcc, v7, v8
	s_and_saveexec_b64 s[0:1], vcc
	s_cbranch_execz .LBB29_238
.LBB29_235:
	v_add_u32_e32 v9, 0x400, v2
	s_mov_b64 s[4:5], 0
.LBB29_236:                             ; =>This Inner Loop Header: Depth=1
	v_sub_u32_e32 v10, v7, v8
	v_lshl_add_u32 v10, v8, 1, v10
	v_ashrrev_i32_e32 v10, 1, v10
	v_lshl_add_u32 v11, v10, 2, v9
	ds_read_b32 v11, v11
	v_add_u32_e32 v12, 1, v10
	s_waitcnt lgkmcnt(0)
	v_cmp_lt_i32_e32 vcc, v11, v4
	v_cndmask_b32_e32 v7, v7, v12, vcc
	v_cndmask_b32_e32 v8, v10, v8, vcc
	v_cmp_ge_i32_e32 vcc, v7, v8
	s_or_b64 s[4:5], vcc, s[4:5]
	s_andn2_b64 exec, exec, s[4:5]
	s_cbranch_execnz .LBB29_236
; %bb.237:
	s_or_b64 exec, exec, s[4:5]
.LBB29_238:
	s_or_b64 exec, exec, s[0:1]
	v_sub_u32_e32 v0, v0, v3
	v_sub_u32_e32 v9, v5, v7
	v_add_u32_e32 v8, v9, v0
	v_ashrrev_i32_e32 v0, 1, v8
	v_max_i32_e32 v0, v0, v9
	v_add3_u32 v7, v7, v0, 1
	v_min_i32_e32 v7, v7, v20
	v_sub_u32_e32 v7, v7, v5
	v_cmp_lt_i32_e32 vcc, 0, v7
	v_mov_b32_e32 v5, 0
	s_and_saveexec_b64 s[0:1], vcc
	s_cbranch_execz .LBB29_242
; %bb.239:
	s_mov_b64 s[4:5], 0
	v_mov_b32_e32 v5, 0
.LBB29_240:                             ; =>This Inner Loop Header: Depth=1
	v_add_u32_e32 v10, v5, v7
	v_ashrrev_i32_e32 v10, 1, v10
	v_lshl_add_u32 v11, v10, 2, v6
	ds_read_b32 v11, v11
	v_add_u32_e32 v12, 1, v10
	s_waitcnt lgkmcnt(0)
	v_cmp_gt_i32_e32 vcc, v11, v4
	v_cndmask_b32_e32 v5, v12, v5, vcc
	v_cndmask_b32_e32 v7, v7, v10, vcc
	v_cmp_ge_i32_e32 vcc, v5, v7
	s_or_b64 s[4:5], vcc, s[4:5]
	s_andn2_b64 exec, exec, s[4:5]
	s_cbranch_execnz .LBB29_240
; %bb.241:
	s_or_b64 exec, exec, s[4:5]
.LBB29_242:
	s_or_b64 exec, exec, s[0:1]
	s_waitcnt lgkmcnt(0)
	v_add_u32_e32 v4, v5, v9
	v_min_i32_e32 v5, v4, v0
	v_sub_u32_e32 v6, v8, v5
	v_add_u32_e32 v5, 1, v5
	v_cmp_eq_u32_e32 vcc, v6, v5
	v_cmp_lt_i32_e64 s[0:1], v0, v4
	s_and_b64 s[0:1], s[0:1], vcc
	v_cndmask_b32_e64 v4, 0, 1, s[0:1]
	v_add_u32_e32 v0, v6, v3
.LBB29_243:
	s_or_b64 exec, exec, s[2:3]
	v_add_u32_e32 v1, v4, v1
	v_sub_u32_e32 v1, v1, v0
	v_lshlrev_b32_e32 v3, 16, v19
	v_or_b32_e32 v3, v3, v20
	v_lshl_or_b32 v4, v0, 16, v1
	v_cmp_eq_u32_e64 s[0:1], 0, v18
	v_cndmask_b32_e64 v3, v4, v3, s[0:1]
	v_add_u32_e32 v4, -1, v18
	v_mov_b32_e32 v5, 0xff
	v_cndmask_b32_e64 v4, v4, v5, s[0:1]
	v_lshlrev_b32_e32 v4, 2, v4
	v_lshlrev_b32_e32 v5, 2, v0
	v_lshl_add_u32 v2, v1, 2, v2
	ds_write_b32 v4, v3
	s_waitcnt lgkmcnt(0)
	s_barrier
	ds_read_b32 v21, v5 offset:1024
	ds_read_b32 v3, v2 offset:1024
	ds_read_b32 v2, v25
	v_mov_b32_e32 v4, v0
	s_waitcnt lgkmcnt(2)
	v_mov_b32_e32 v20, v21
	s_waitcnt lgkmcnt(1)
	v_cmp_ge_i32_e32 vcc, v3, v21
	s_and_saveexec_b64 s[2:3], vcc
	s_cbranch_execz .LBB29_245
; %bb.244:
	ds_read_b32 v20, v5 offset:1028
	v_add_u32_e32 v4, 1, v0
.LBB29_245:
	s_or_b64 exec, exec, s[2:3]
	v_add_u32_e32 v5, v1, v19
	v_cmp_ge_i32_e32 vcc, v21, v3
	v_mov_b32_e32 v6, v3
	s_and_saveexec_b64 s[2:3], vcc
	s_cbranch_execz .LBB29_247
; %bb.246:
	v_lshlrev_b32_e32 v6, 2, v5
	ds_read_b32 v6, v6 offset:1028
	v_add_u32_e32 v5, 1, v5
.LBB29_247:
	s_or_b64 exec, exec, s[2:3]
	s_waitcnt lgkmcnt(0)
	v_cmp_ge_i32_e32 vcc, v6, v20
	v_mov_b32_e32 v22, v20
	v_mov_b32_e32 v7, v4
	s_and_saveexec_b64 s[2:3], vcc
	s_cbranch_execz .LBB29_249
; %bb.248:
	v_lshlrev_b32_e32 v7, 2, v4
	ds_read_b32 v22, v7 offset:1028
	v_add_u32_e32 v7, 1, v4
.LBB29_249:
	s_or_b64 exec, exec, s[2:3]
	v_cmp_ge_i32_e32 vcc, v20, v6
	v_mov_b32_e32 v8, v6
	v_mov_b32_e32 v9, v5
	s_and_saveexec_b64 s[2:3], vcc
	s_cbranch_execz .LBB29_251
; %bb.250:
	v_lshlrev_b32_e32 v8, 2, v5
	ds_read_b32 v8, v8 offset:1028
	v_add_u32_e32 v9, 1, v5
.LBB29_251:
	s_or_b64 exec, exec, s[2:3]
	s_waitcnt lgkmcnt(0)
	v_cmp_ge_i32_e32 vcc, v8, v22
	v_mov_b32_e32 v23, v22
	v_mov_b32_e32 v10, v7
	s_and_saveexec_b64 s[2:3], vcc
	s_cbranch_execz .LBB29_253
; %bb.252:
	v_lshlrev_b32_e32 v10, 2, v7
	ds_read_b32 v23, v10 offset:1028
	v_add_u32_e32 v10, 1, v7
.LBB29_253:
	s_or_b64 exec, exec, s[2:3]
	v_cmp_ge_i32_e32 vcc, v22, v8
	v_mov_b32_e32 v11, v8
	;; [unrolled: 23-line block ×14, first 2 shown]
	v_mov_b32_e32 v66, v64
	s_and_saveexec_b64 s[2:3], vcc
	s_cbranch_execz .LBB29_303
; %bb.302:
	v_lshlrev_b32_e32 v66, 2, v64
	ds_read_b32 v67, v66 offset:1028
	v_add_u32_e32 v66, 1, v64
.LBB29_303:
	s_or_b64 exec, exec, s[2:3]
	v_add_u32_sdwa v19, v2, v19 dst_sel:DWORD dst_unused:UNUSED_PAD src0_sel:WORD_0 src1_sel:DWORD
	v_cmp_ge_i32_sdwa s[4:5], v65, sext(v2) src0_sel:DWORD src1_sel:WORD_1
	v_cmp_ge_i32_e64 s[2:3], v66, v19
	s_waitcnt lgkmcnt(0)
	v_cmp_ne_u32_e32 vcc, v67, v36
	s_or_b64 s[2:3], s[4:5], s[2:3]
	v_mov_b32_e32 v65, 0x8000
	s_or_b64 s[2:3], vcc, s[2:3]
	v_cndmask_b32_e64 v65, v65, 0, s[2:3]
	v_cmp_ge_i32_sdwa s[4:5], v62, sext(v2) src0_sel:DWORD src1_sel:WORD_1
	v_cmp_ge_i32_e64 s[2:3], v64, v19
	v_cmp_ne_u32_e32 vcc, v63, v35
	s_or_b64 s[2:3], s[4:5], s[2:3]
	v_mov_b32_e32 v62, 0x4000
	s_or_b64 s[2:3], vcc, s[2:3]
	v_cndmask_b32_e64 v62, v62, 0, s[2:3]
	v_cmp_ge_i32_sdwa s[4:5], v59, sext(v2) src0_sel:DWORD src1_sel:WORD_1
	v_cmp_ge_i32_e64 s[2:3], v61, v19
	;; [unrolled: 7-line block ×9, first 2 shown]
	v_cmp_ne_u32_e32 vcc, v39, v27
	s_or_b64 s[2:3], s[4:5], s[2:3]
	s_or_b64 s[2:3], vcc, s[2:3]
	v_cndmask_b32_e64 v38, 64, 0, s[2:3]
	v_cmp_ge_i32_sdwa s[4:5], v16, sext(v2) src0_sel:DWORD src1_sel:WORD_1
	v_cmp_ge_i32_e64 s[2:3], v37, v19
	v_cmp_ne_u32_e32 vcc, v17, v26
	s_or_b64 s[2:3], s[4:5], s[2:3]
	s_or_b64 s[8:9], vcc, s[2:3]
	v_cmp_ge_i32_sdwa s[6:7], v13, sext(v2) src0_sel:DWORD src1_sel:WORD_1
	v_cmp_ge_i32_e64 s[2:3], v15, v19
	v_cmp_ne_u32_e32 vcc, v14, v24
	s_or_b64 s[2:3], s[6:7], s[2:3]
	s_or_b64 s[10:11], vcc, s[2:3]
	v_cmp_ge_i32_sdwa s[6:7], v10, sext(v2) src0_sel:DWORD src1_sel:WORD_1
	v_cmp_ge_i32_e64 s[2:3], v12, v19
	v_cmp_ne_u32_e32 vcc, v11, v23
	s_or_b64 s[2:3], s[6:7], s[2:3]
	s_or_b64 s[16:17], vcc, s[2:3]
	v_cmp_ge_i32_sdwa s[6:7], v7, sext(v2) src0_sel:DWORD src1_sel:WORD_1
	v_cmp_ge_i32_e64 s[2:3], v9, v19
	v_cmp_ne_u32_e32 vcc, v8, v22
	s_or_b64 s[2:3], s[6:7], s[2:3]
	s_or_b64 s[18:19], vcc, s[2:3]
	v_cmp_ge_i32_sdwa s[6:7], v4, sext(v2) src0_sel:DWORD src1_sel:WORD_1
	v_cmp_ge_i32_e64 s[2:3], v5, v19
	v_cmp_ne_u32_e32 vcc, v6, v20
	s_or_b64 s[2:3], s[6:7], s[2:3]
	s_or_b64 s[22:23], vcc, s[2:3]
	v_cmp_gt_i32_sdwa s[2:3], sext(v2), v0 src0_sel:WORD_1 src1_sel:DWORD
	v_cmp_gt_i32_sdwa s[6:7], v2, v1 src0_sel:WORD_0 src1_sel:DWORD
	v_cmp_eq_u32_e32 vcc, v3, v21
	s_and_b64 s[2:3], s[2:3], s[6:7]
	s_and_b64 s[20:21], s[2:3], vcc
	v_cndmask_b32_e64 v7, 4, 0, s[18:19]
	v_cndmask_b32_e64 v4, 2, 0, s[22:23]
	;; [unrolled: 1-line block ×5, first 2 shown]
	v_or3_b32 v0, v4, v0, v7
	v_cndmask_b32_e64 v16, 32, 0, s[8:9]
	v_or3_b32 v0, v0, v10, v13
	v_or3_b32 v41, v0, v16, v38
	v_or_b32_e32 v40, v42, v41
	v_or3_b32 v39, v44, v47, v40
	v_or3_b32 v38, v50, v53, v39
	;; [unrolled: 1-line block ×4, first 2 shown]
	s_mov_b64 s[4:5], -1
	v_bcnt_u32_b32 v8, v19, 0
	v_mov_b32_e32 v9, 0
	s_cmp_lg_u32 s14, 0
	v_mbcnt_lo_u32_b32 v42, -1, 0
	s_barrier
	s_cbranch_scc0 .LBB29_332
; %bb.304:
	v_mov_b32_dpp v1, v8 row_shr:1 row_mask:0xf bank_mask:0xf
	v_add_co_u32_e32 v1, vcc, v1, v8
	v_mbcnt_hi_u32_b32 v16, -1, v42
	v_mov_b32_dpp v2, v9 row_shr:1 row_mask:0xf bank_mask:0xf
	v_addc_co_u32_e64 v3, s[2:3], 0, 0, vcc
	v_add_co_u32_e32 v4, vcc, 0, v1
	v_and_b32_e32 v0, 15, v16
	v_addc_co_u32_e32 v2, vcc, v2, v3, vcc
	v_cmp_eq_u32_e32 vcc, 0, v0
	v_cndmask_b32_e32 v1, v1, v8, vcc
	v_cndmask_b32_e64 v2, v2, 0, vcc
	v_cndmask_b32_e32 v3, v4, v8, vcc
	v_mov_b32_dpp v4, v1 row_shr:2 row_mask:0xf bank_mask:0xf
	v_mov_b32_dpp v5, v2 row_shr:2 row_mask:0xf bank_mask:0xf
	v_add_co_u32_e32 v4, vcc, v4, v3
	v_addc_co_u32_e32 v5, vcc, v5, v2, vcc
	v_cmp_lt_u32_e32 vcc, 1, v0
	v_cndmask_b32_e32 v1, v1, v4, vcc
	v_cndmask_b32_e32 v2, v2, v5, vcc
	v_cndmask_b32_e32 v3, v3, v4, vcc
	v_mov_b32_dpp v4, v1 row_shr:4 row_mask:0xf bank_mask:0xf
	v_mov_b32_dpp v5, v2 row_shr:4 row_mask:0xf bank_mask:0xf
	v_add_co_u32_e32 v4, vcc, v4, v3
	v_addc_co_u32_e32 v5, vcc, v5, v2, vcc
	v_cmp_lt_u32_e32 vcc, 3, v0
	v_cndmask_b32_e32 v1, v1, v4, vcc
	v_cndmask_b32_e32 v2, v2, v5, vcc
	;; [unrolled: 8-line block ×3, first 2 shown]
	v_cndmask_b32_e32 v2, v4, v6, vcc
	v_mov_b32_dpp v1, v0 row_bcast:15 row_mask:0xf bank_mask:0xf
	v_mov_b32_dpp v5, v3 row_bcast:15 row_mask:0xf bank_mask:0xf
	v_add_co_u32_e32 v4, vcc, v1, v2
	v_and_b32_e32 v7, 16, v16
	v_addc_co_u32_e32 v6, vcc, v5, v3, vcc
	v_cmp_eq_u32_e32 vcc, 0, v7
	v_cndmask_b32_e32 v1, v6, v3, vcc
	v_cndmask_b32_e32 v0, v4, v0, vcc
	v_cmp_eq_u32_e64 s[2:3], 0, v16
	v_mov_b32_dpp v7, v1 row_bcast:31 row_mask:0xf bank_mask:0xf
	v_mov_b32_dpp v5, v0 row_bcast:31 row_mask:0xf bank_mask:0xf
	v_cmp_ne_u32_e64 s[4:5], 0, v16
	v_pk_mov_b32 v[0:1], v[8:9], v[8:9] op_sel:[0,1]
	s_and_saveexec_b64 s[6:7], s[4:5]
; %bb.305:
	v_cndmask_b32_e32 v1, v6, v3, vcc
	v_cndmask_b32_e32 v0, v4, v2, vcc
	v_cmp_lt_u32_e32 vcc, 31, v16
	v_cndmask_b32_e32 v3, 0, v5, vcc
	v_cndmask_b32_e32 v2, 0, v7, vcc
	v_add_co_u32_e32 v0, vcc, v3, v0
	v_addc_co_u32_e32 v1, vcc, v2, v1, vcc
; %bb.306:
	s_or_b64 exec, exec, s[6:7]
	v_and_b32_e32 v3, 0x3c0, v18
	v_min_u32_e32 v3, 0xc0, v3
	v_or_b32_e32 v3, 63, v3
	v_lshrrev_b32_e32 v2, 6, v18
	v_cmp_eq_u32_e32 vcc, v3, v18
	s_and_saveexec_b64 s[4:5], vcc
	s_cbranch_execz .LBB29_308
; %bb.307:
	v_lshlrev_b32_e32 v3, 3, v2
	ds_write_b64 v3, v[0:1]
.LBB29_308:
	s_or_b64 exec, exec, s[4:5]
	v_cmp_gt_u32_e32 vcc, 4, v18
	s_waitcnt lgkmcnt(0)
	s_barrier
	s_and_saveexec_b64 s[6:7], vcc
	s_cbranch_execz .LBB29_310
; %bb.309:
	v_lshlrev_b32_e32 v1, 3, v18
	ds_read_b64 v[4:5], v1
	v_and_b32_e32 v3, 3, v16
	v_cmp_ne_u32_e64 s[4:5], 1, v3
	s_waitcnt lgkmcnt(0)
	v_mov_b32_dpp v6, v4 row_shr:1 row_mask:0xf bank_mask:0xf
	v_add_co_u32_e32 v6, vcc, v4, v6
	v_addc_co_u32_e32 v10, vcc, 0, v5, vcc
	v_mov_b32_dpp v7, v5 row_shr:1 row_mask:0xf bank_mask:0xf
	v_add_co_u32_e32 v11, vcc, 0, v6
	v_addc_co_u32_e32 v7, vcc, v7, v10, vcc
	v_cmp_eq_u32_e32 vcc, 0, v3
	v_cndmask_b32_e32 v6, v6, v4, vcc
	v_cndmask_b32_e32 v10, v7, v5, vcc
	s_nop 0
	v_mov_b32_dpp v6, v6 row_shr:2 row_mask:0xf bank_mask:0xf
	v_mov_b32_dpp v10, v10 row_shr:2 row_mask:0xf bank_mask:0xf
	v_cndmask_b32_e64 v3, 0, v6, s[4:5]
	v_cndmask_b32_e64 v6, 0, v10, s[4:5]
	v_add_co_u32_e64 v3, s[4:5], v3, v11
	v_addc_co_u32_e64 v6, s[4:5], v6, v7, s[4:5]
	v_cndmask_b32_e32 v5, v6, v5, vcc
	v_cndmask_b32_e32 v4, v3, v4, vcc
	ds_write_b64 v1, v[4:5]
.LBB29_310:
	s_or_b64 exec, exec, s[6:7]
	v_cmp_gt_u32_e32 vcc, 64, v18
	v_cmp_lt_u32_e64 s[4:5], 63, v18
	s_waitcnt lgkmcnt(0)
	s_barrier
	s_waitcnt lgkmcnt(0)
                                        ; implicit-def: $vgpr10_vgpr11
	s_and_saveexec_b64 s[6:7], s[4:5]
	s_cbranch_execz .LBB29_312
; %bb.311:
	v_lshl_add_u32 v1, v2, 3, -8
	ds_read_b64 v[10:11], v1
	s_waitcnt lgkmcnt(0)
	v_add_co_u32_e64 v0, s[4:5], v10, v0
.LBB29_312:
	s_or_b64 exec, exec, s[6:7]
	v_add_u32_e32 v1, -1, v16
	v_and_b32_e32 v2, 64, v16
	v_cmp_lt_i32_e64 s[4:5], v1, v2
	v_cndmask_b32_e64 v1, v1, v16, s[4:5]
	v_lshlrev_b32_e32 v1, 2, v1
	ds_bpermute_b32 v11, v1, v0
	s_and_saveexec_b64 s[24:25], vcc
	s_cbranch_execz .LBB29_331
; %bb.313:
	v_mov_b32_e32 v3, 0
	ds_read_b64 v[0:1], v3 offset:24
	s_and_saveexec_b64 s[4:5], s[2:3]
	s_cbranch_execz .LBB29_315
; %bb.314:
	s_add_i32 s6, s14, 64
	s_mov_b32 s7, 0
	s_lshl_b64 s[6:7], s[6:7], 4
	s_add_u32 s6, s12, s6
	s_addc_u32 s7, s13, s7
	v_mov_b32_e32 v2, 1
	v_pk_mov_b32 v[4:5], s[6:7], s[6:7] op_sel:[0,1]
	s_waitcnt lgkmcnt(0)
	;;#ASMSTART
	global_store_dwordx4 v[4:5], v[0:3] off	
s_waitcnt vmcnt(0)
	;;#ASMEND
.LBB29_315:
	s_or_b64 exec, exec, s[4:5]
	v_xad_u32 v12, v16, -1, s14
	v_add_u32_e32 v2, 64, v12
	v_lshlrev_b64 v[4:5], 4, v[2:3]
	v_mov_b32_e32 v2, s13
	v_add_co_u32_e32 v14, vcc, s12, v4
	v_addc_co_u32_e32 v15, vcc, v2, v5, vcc
	;;#ASMSTART
	global_load_dwordx4 v[4:7], v[14:15] off glc	
s_waitcnt vmcnt(0)
	;;#ASMEND
	v_and_b32_e32 v2, 0xff, v5
	v_and_b32_e32 v7, 0xff00, v5
	;; [unrolled: 1-line block ×3, first 2 shown]
	v_or3_b32 v2, 0, v2, v7
	v_or3_b32 v4, v4, 0, 0
	v_and_b32_e32 v5, 0xff000000, v5
	v_or3_b32 v5, v2, v13, v5
	v_or3_b32 v4, v4, 0, 0
	v_cmp_eq_u16_sdwa s[6:7], v6, v3 src0_sel:BYTE_0 src1_sel:DWORD
	s_and_saveexec_b64 s[4:5], s[6:7]
	s_cbranch_execz .LBB29_319
; %bb.316:
	s_mov_b64 s[6:7], 0
	v_mov_b32_e32 v2, 0
.LBB29_317:                             ; =>This Inner Loop Header: Depth=1
	;;#ASMSTART
	global_load_dwordx4 v[4:7], v[14:15] off glc	
s_waitcnt vmcnt(0)
	;;#ASMEND
	v_cmp_ne_u16_sdwa s[26:27], v6, v2 src0_sel:BYTE_0 src1_sel:DWORD
	s_or_b64 s[6:7], s[26:27], s[6:7]
	s_andn2_b64 exec, exec, s[6:7]
	s_cbranch_execnz .LBB29_317
; %bb.318:
	s_or_b64 exec, exec, s[6:7]
.LBB29_319:
	s_or_b64 exec, exec, s[4:5]
	v_and_b32_e32 v44, 63, v16
	v_mov_b32_e32 v43, 2
	v_cmp_ne_u32_e32 vcc, 63, v44
	v_cmp_eq_u16_sdwa s[4:5], v6, v43 src0_sel:BYTE_0 src1_sel:DWORD
	v_lshlrev_b64 v[14:15], v16, -1
	v_addc_co_u32_e32 v7, vcc, 0, v16, vcc
	v_and_b32_e32 v2, s5, v15
	v_lshlrev_b32_e32 v45, 2, v7
	v_or_b32_e32 v2, 0x80000000, v2
	ds_bpermute_b32 v7, v45, v4
	v_and_b32_e32 v3, s4, v14
	v_ffbl_b32_e32 v2, v2
	v_add_u32_e32 v2, 32, v2
	v_ffbl_b32_e32 v3, v3
	v_min_u32_e32 v2, v3, v2
	ds_bpermute_b32 v3, v45, v5
	s_waitcnt lgkmcnt(1)
	v_add_co_u32_e32 v7, vcc, v4, v7
	v_addc_co_u32_e32 v17, vcc, 0, v5, vcc
	v_add_co_u32_e32 v47, vcc, 0, v7
	v_cmp_gt_u32_e64 s[4:5], 62, v44
	s_waitcnt lgkmcnt(0)
	v_addc_co_u32_e32 v3, vcc, v3, v17, vcc
	v_cndmask_b32_e64 v17, 0, 1, s[4:5]
	v_cmp_lt_u32_e32 vcc, v44, v2
	v_lshlrev_b32_e32 v17, 1, v17
	v_cndmask_b32_e32 v7, v4, v7, vcc
	v_add_lshl_u32 v46, v17, v16, 2
	v_cndmask_b32_e32 v3, v5, v3, vcc
	ds_bpermute_b32 v17, v46, v7
	ds_bpermute_b32 v48, v46, v3
	v_cndmask_b32_e32 v49, v4, v47, vcc
	v_add_u32_e32 v47, 2, v44
	v_cmp_gt_u32_e64 s[6:7], 60, v44
	s_waitcnt lgkmcnt(1)
	v_add_co_u32_e64 v17, s[4:5], v17, v49
	s_waitcnt lgkmcnt(0)
	v_addc_co_u32_e64 v48, s[4:5], v48, v3, s[4:5]
	v_cmp_gt_u32_e64 s[4:5], v47, v2
	v_cndmask_b32_e64 v3, v48, v3, s[4:5]
	v_cndmask_b32_e64 v48, 0, 1, s[6:7]
	v_lshlrev_b32_e32 v48, 2, v48
	v_cndmask_b32_e64 v7, v17, v7, s[4:5]
	v_add_lshl_u32 v48, v48, v16, 2
	ds_bpermute_b32 v50, v48, v7
	ds_bpermute_b32 v51, v48, v3
	v_cndmask_b32_e64 v17, v17, v49, s[4:5]
	v_add_u32_e32 v49, 4, v44
	v_cmp_gt_u32_e64 s[6:7], 56, v44
	s_waitcnt lgkmcnt(1)
	v_add_co_u32_e64 v52, s[4:5], v50, v17
	s_waitcnt lgkmcnt(0)
	v_addc_co_u32_e64 v50, s[4:5], v51, v3, s[4:5]
	v_cmp_gt_u32_e64 s[4:5], v49, v2
	v_cndmask_b32_e64 v3, v50, v3, s[4:5]
	v_cndmask_b32_e64 v50, 0, 1, s[6:7]
	v_lshlrev_b32_e32 v50, 3, v50
	v_cndmask_b32_e64 v7, v52, v7, s[4:5]
	v_add_lshl_u32 v50, v50, v16, 2
	ds_bpermute_b32 v53, v50, v7
	v_cndmask_b32_e64 v17, v52, v17, s[4:5]
	ds_bpermute_b32 v52, v50, v3
	v_add_u32_e32 v51, 8, v44
	v_cmp_gt_u32_e64 s[6:7], 48, v44
	s_waitcnt lgkmcnt(1)
	v_add_co_u32_e64 v53, s[4:5], v53, v17
	s_waitcnt lgkmcnt(0)
	v_addc_co_u32_e64 v52, s[4:5], v52, v3, s[4:5]
	v_cmp_gt_u32_e64 s[4:5], v51, v2
	v_cndmask_b32_e64 v3, v52, v3, s[4:5]
	v_cndmask_b32_e64 v52, 0, 1, s[6:7]
	v_lshlrev_b32_e32 v52, 4, v52
	v_cndmask_b32_e64 v7, v53, v7, s[4:5]
	v_add_lshl_u32 v52, v52, v16, 2
	ds_bpermute_b32 v54, v52, v7
	ds_bpermute_b32 v55, v52, v3
	v_cndmask_b32_e64 v17, v53, v17, s[4:5]
	v_cmp_gt_u32_e64 s[6:7], 32, v44
	v_add_u32_e32 v53, 16, v44
	s_waitcnt lgkmcnt(1)
	v_add_co_u32_e64 v56, s[4:5], v54, v17
	s_waitcnt lgkmcnt(0)
	v_addc_co_u32_e64 v55, s[4:5], v55, v3, s[4:5]
	v_cndmask_b32_e64 v54, 0, 1, s[6:7]
	v_cmp_gt_u32_e64 s[4:5], v53, v2
	v_lshlrev_b32_e32 v54, 5, v54
	v_cndmask_b32_e64 v7, v56, v7, s[4:5]
	v_add_lshl_u32 v54, v54, v16, 2
	v_cndmask_b32_e64 v3, v55, v3, s[4:5]
	ds_bpermute_b32 v7, v54, v7
	ds_bpermute_b32 v16, v54, v3
	v_add_u32_e32 v55, 32, v44
	v_cndmask_b32_e64 v17, v56, v17, s[4:5]
	v_cmp_le_u32_e64 s[4:5], v55, v2
	s_waitcnt lgkmcnt(1)
	v_cndmask_b32_e64 v7, 0, v7, s[4:5]
	s_waitcnt lgkmcnt(0)
	v_cndmask_b32_e64 v2, 0, v16, s[4:5]
	v_add_co_u32_e64 v7, s[4:5], v7, v17
	v_addc_co_u32_e64 v2, s[4:5], v2, v3, s[4:5]
	v_mov_b32_e32 v13, 0
	v_cndmask_b32_e32 v5, v5, v2, vcc
	v_cndmask_b32_e32 v4, v4, v7, vcc
	s_branch .LBB29_321
.LBB29_320:                             ;   in Loop: Header=BB29_321 Depth=1
	s_or_b64 exec, exec, s[4:5]
	v_cmp_eq_u16_sdwa s[4:5], v6, v43 src0_sel:BYTE_0 src1_sel:DWORD
	v_and_b32_e32 v7, s5, v15
	v_or_b32_e32 v7, 0x80000000, v7
	ds_bpermute_b32 v17, v45, v4
	v_and_b32_e32 v16, s4, v14
	v_ffbl_b32_e32 v7, v7
	v_add_u32_e32 v7, 32, v7
	v_ffbl_b32_e32 v16, v16
	v_min_u32_e32 v7, v16, v7
	ds_bpermute_b32 v16, v45, v5
	s_waitcnt lgkmcnt(1)
	v_add_co_u32_e32 v17, vcc, v4, v17
	v_addc_co_u32_e32 v56, vcc, 0, v5, vcc
	v_add_co_u32_e32 v57, vcc, 0, v17
	s_waitcnt lgkmcnt(0)
	v_addc_co_u32_e32 v16, vcc, v16, v56, vcc
	v_cmp_lt_u32_e32 vcc, v44, v7
	v_cndmask_b32_e32 v17, v4, v17, vcc
	ds_bpermute_b32 v56, v46, v17
	v_cndmask_b32_e32 v16, v5, v16, vcc
	ds_bpermute_b32 v58, v46, v16
	v_cndmask_b32_e32 v57, v4, v57, vcc
	v_subrev_u32_e32 v12, 64, v12
	s_waitcnt lgkmcnt(1)
	v_add_co_u32_e64 v56, s[4:5], v56, v57
	s_waitcnt lgkmcnt(0)
	v_addc_co_u32_e64 v58, s[4:5], v58, v16, s[4:5]
	v_cmp_gt_u32_e64 s[4:5], v47, v7
	v_cndmask_b32_e64 v17, v56, v17, s[4:5]
	ds_bpermute_b32 v59, v48, v17
	v_cndmask_b32_e64 v16, v58, v16, s[4:5]
	ds_bpermute_b32 v58, v48, v16
	v_cndmask_b32_e64 v56, v56, v57, s[4:5]
	s_waitcnt lgkmcnt(1)
	v_add_co_u32_e64 v57, s[4:5], v59, v56
	s_waitcnt lgkmcnt(0)
	v_addc_co_u32_e64 v58, s[4:5], v58, v16, s[4:5]
	v_cmp_gt_u32_e64 s[4:5], v49, v7
	v_cndmask_b32_e64 v17, v57, v17, s[4:5]
	ds_bpermute_b32 v59, v50, v17
	v_cndmask_b32_e64 v16, v58, v16, s[4:5]
	ds_bpermute_b32 v58, v50, v16
	v_cndmask_b32_e64 v56, v57, v56, s[4:5]
	;; [unrolled: 10-line block ×3, first 2 shown]
	s_waitcnt lgkmcnt(1)
	v_add_co_u32_e64 v57, s[4:5], v59, v56
	s_waitcnt lgkmcnt(0)
	v_addc_co_u32_e64 v58, s[4:5], v58, v16, s[4:5]
	v_cmp_gt_u32_e64 s[4:5], v53, v7
	v_cndmask_b32_e64 v17, v57, v17, s[4:5]
	v_cndmask_b32_e64 v16, v58, v16, s[4:5]
	ds_bpermute_b32 v17, v54, v17
	ds_bpermute_b32 v58, v54, v16
	v_cndmask_b32_e64 v56, v57, v56, s[4:5]
	v_cmp_le_u32_e64 s[4:5], v55, v7
	s_waitcnt lgkmcnt(1)
	v_cndmask_b32_e64 v17, 0, v17, s[4:5]
	s_waitcnt lgkmcnt(0)
	v_cndmask_b32_e64 v7, 0, v58, s[4:5]
	v_add_co_u32_e64 v17, s[4:5], v17, v56
	v_addc_co_u32_e64 v7, s[4:5], v7, v16, s[4:5]
	v_cndmask_b32_e32 v4, v4, v17, vcc
	v_cndmask_b32_e32 v5, v5, v7, vcc
	v_add_co_u32_e32 v4, vcc, v4, v2
	v_addc_co_u32_e32 v5, vcc, v5, v3, vcc
.LBB29_321:                             ; =>This Loop Header: Depth=1
                                        ;     Child Loop BB29_324 Depth 2
	v_cmp_ne_u16_sdwa s[4:5], v6, v43 src0_sel:BYTE_0 src1_sel:DWORD
	v_cndmask_b32_e64 v2, 0, 1, s[4:5]
	;;#ASMSTART
	;;#ASMEND
	v_cmp_ne_u32_e32 vcc, 0, v2
	s_cmp_lg_u64 vcc, exec
	v_pk_mov_b32 v[2:3], v[4:5], v[4:5] op_sel:[0,1]
	s_cbranch_scc1 .LBB29_326
; %bb.322:                              ;   in Loop: Header=BB29_321 Depth=1
	v_lshlrev_b64 v[4:5], 4, v[12:13]
	v_mov_b32_e32 v6, s13
	v_add_co_u32_e32 v16, vcc, s12, v4
	v_addc_co_u32_e32 v17, vcc, v6, v5, vcc
	;;#ASMSTART
	global_load_dwordx4 v[4:7], v[16:17] off glc	
s_waitcnt vmcnt(0)
	;;#ASMEND
	v_and_b32_e32 v7, 0xff, v5
	v_and_b32_e32 v56, 0xff00, v5
	;; [unrolled: 1-line block ×3, first 2 shown]
	v_or3_b32 v7, 0, v7, v56
	v_or3_b32 v4, v4, 0, 0
	v_and_b32_e32 v5, 0xff000000, v5
	v_or3_b32 v5, v7, v57, v5
	v_or3_b32 v4, v4, 0, 0
	v_cmp_eq_u16_sdwa s[6:7], v6, v13 src0_sel:BYTE_0 src1_sel:DWORD
	s_and_saveexec_b64 s[4:5], s[6:7]
	s_cbranch_execz .LBB29_320
; %bb.323:                              ;   in Loop: Header=BB29_321 Depth=1
	s_mov_b64 s[6:7], 0
.LBB29_324:                             ;   Parent Loop BB29_321 Depth=1
                                        ; =>  This Inner Loop Header: Depth=2
	;;#ASMSTART
	global_load_dwordx4 v[4:7], v[16:17] off glc	
s_waitcnt vmcnt(0)
	;;#ASMEND
	v_cmp_ne_u16_sdwa s[26:27], v6, v13 src0_sel:BYTE_0 src1_sel:DWORD
	s_or_b64 s[6:7], s[26:27], s[6:7]
	s_andn2_b64 exec, exec, s[6:7]
	s_cbranch_execnz .LBB29_324
; %bb.325:                              ;   in Loop: Header=BB29_321 Depth=1
	s_or_b64 exec, exec, s[6:7]
	s_branch .LBB29_320
.LBB29_326:                             ;   in Loop: Header=BB29_321 Depth=1
                                        ; implicit-def: $vgpr4_vgpr5
                                        ; implicit-def: $vgpr6
	s_cbranch_execz .LBB29_321
; %bb.327:
	s_and_saveexec_b64 s[4:5], s[2:3]
	s_cbranch_execz .LBB29_329
; %bb.328:
	s_add_i32 s6, s14, 64
	s_mov_b32 s7, 0
	s_lshl_b64 s[6:7], s[6:7], 4
	s_add_u32 s6, s12, s6
	v_add_co_u32_e32 v4, vcc, v2, v0
	s_addc_u32 s7, s13, s7
	v_addc_co_u32_e32 v5, vcc, v3, v1, vcc
	v_mov_b32_e32 v6, 2
	v_mov_b32_e32 v7, 0
	v_pk_mov_b32 v[12:13], s[6:7], s[6:7] op_sel:[0,1]
	;;#ASMSTART
	global_store_dwordx4 v[12:13], v[4:7] off	
s_waitcnt vmcnt(0)
	;;#ASMEND
	ds_write_b128 v7, v[0:3] offset:32
.LBB29_329:
	s_or_b64 exec, exec, s[4:5]
	s_and_b64 exec, exec, s[0:1]
	s_cbranch_execz .LBB29_331
; %bb.330:
	v_mov_b32_e32 v0, 0
	ds_write_b64 v0, v[2:3] offset:24
.LBB29_331:
	s_or_b64 exec, exec, s[24:25]
	v_mov_b32_e32 v0, 0
	s_waitcnt lgkmcnt(0)
	s_barrier
	ds_read_b64 v[2:3], v0 offset:24
	s_waitcnt lgkmcnt(0)
	s_barrier
	ds_read_b64 v[0:1], v0 offset:40
	v_cndmask_b32_e64 v4, v11, v10, s[2:3]
	s_waitcnt lgkmcnt(0)
	v_cndmask_b32_e64 v1, v4, 0, s[0:1]
	v_add_co_u32_e32 v4, vcc, v2, v1
	s_branch .LBB29_344
.LBB29_332:
                                        ; implicit-def: $vgpr0_vgpr1
                                        ; implicit-def: $vgpr4_vgpr5
	s_and_b64 vcc, exec, s[4:5]
	s_cbranch_vccz .LBB29_344
; %bb.333:
	v_mov_b32_dpp v3, v8 row_shr:1 row_mask:0xf bank_mask:0xf
	v_mov_b32_e32 v0, 0
	v_add_co_u32_e32 v3, vcc, v3, v8
	v_mbcnt_hi_u32_b32 v2, -1, v42
	v_mov_b32_dpp v0, v0 row_shr:1 row_mask:0xf bank_mask:0xf
	v_addc_co_u32_e64 v4, s[2:3], 0, 0, vcc
	v_add_co_u32_e32 v5, vcc, 0, v3
	v_and_b32_e32 v1, 15, v2
	v_addc_co_u32_e32 v0, vcc, v0, v4, vcc
	v_cmp_eq_u32_e32 vcc, 0, v1
	v_cndmask_b32_e32 v3, v3, v8, vcc
	v_cndmask_b32_e64 v0, v0, 0, vcc
	v_cndmask_b32_e32 v4, v5, v8, vcc
	v_mov_b32_dpp v5, v3 row_shr:2 row_mask:0xf bank_mask:0xf
	v_mov_b32_dpp v6, v0 row_shr:2 row_mask:0xf bank_mask:0xf
	v_add_co_u32_e32 v5, vcc, v5, v4
	v_addc_co_u32_e32 v6, vcc, v6, v0, vcc
	v_cmp_lt_u32_e32 vcc, 1, v1
	v_cndmask_b32_e32 v3, v3, v5, vcc
	v_cndmask_b32_e32 v0, v0, v6, vcc
	v_cndmask_b32_e32 v4, v4, v5, vcc
	v_mov_b32_dpp v5, v3 row_shr:4 row_mask:0xf bank_mask:0xf
	v_mov_b32_dpp v6, v0 row_shr:4 row_mask:0xf bank_mask:0xf
	v_add_co_u32_e32 v5, vcc, v5, v4
	v_addc_co_u32_e32 v6, vcc, v6, v0, vcc
	v_cmp_lt_u32_e32 vcc, 3, v1
	v_cndmask_b32_e32 v3, v3, v5, vcc
	v_cndmask_b32_e32 v0, v0, v6, vcc
	;; [unrolled: 8-line block ×3, first 2 shown]
	v_cndmask_b32_e32 v0, v4, v5, vcc
	v_mov_b32_dpp v4, v1 row_bcast:15 row_mask:0xf bank_mask:0xf
	v_mov_b32_dpp v3, v6 row_bcast:15 row_mask:0xf bank_mask:0xf
	v_and_b32_e32 v7, 16, v2
	v_add_co_u32_e32 v3, vcc, v3, v0
	v_addc_co_u32_e32 v5, vcc, v4, v1, vcc
	v_cmp_eq_u32_e64 s[2:3], 0, v7
	v_cndmask_b32_e64 v7, v5, v1, s[2:3]
	v_cndmask_b32_e64 v4, v3, v6, s[2:3]
	v_cmp_eq_u32_e32 vcc, 0, v2
	v_mov_b32_dpp v6, v7 row_bcast:31 row_mask:0xf bank_mask:0xf
	v_mov_b32_dpp v4, v4 row_bcast:31 row_mask:0xf bank_mask:0xf
	v_cmp_ne_u32_e64 s[4:5], 0, v2
	s_and_saveexec_b64 s[6:7], s[4:5]
; %bb.334:
	v_cndmask_b32_e64 v1, v5, v1, s[2:3]
	v_cndmask_b32_e64 v0, v3, v0, s[2:3]
	v_cmp_lt_u32_e64 s[2:3], 31, v2
	v_cndmask_b32_e64 v4, 0, v4, s[2:3]
	v_cndmask_b32_e64 v3, 0, v6, s[2:3]
	v_add_co_u32_e64 v8, s[2:3], v4, v0
	v_addc_co_u32_e64 v9, s[2:3], v3, v1, s[2:3]
; %bb.335:
	s_or_b64 exec, exec, s[6:7]
	v_and_b32_e32 v0, 0x3c0, v18
	v_min_u32_e32 v0, 0xc0, v0
	v_or_b32_e32 v0, 63, v0
	v_lshrrev_b32_e32 v3, 6, v18
	v_cmp_eq_u32_e64 s[2:3], v0, v18
	s_and_saveexec_b64 s[4:5], s[2:3]
	s_cbranch_execz .LBB29_337
; %bb.336:
	v_lshlrev_b32_e32 v0, 3, v3
	ds_write_b64 v0, v[8:9]
.LBB29_337:
	s_or_b64 exec, exec, s[4:5]
	v_cmp_gt_u32_e64 s[2:3], 4, v18
	s_waitcnt lgkmcnt(0)
	s_barrier
	s_and_saveexec_b64 s[6:7], s[2:3]
	s_cbranch_execz .LBB29_339
; %bb.338:
	v_lshl_add_u32 v4, v18, 2, v25
	ds_read_b64 v[0:1], v4
	v_and_b32_e32 v5, 3, v2
	v_cmp_ne_u32_e64 s[4:5], 1, v5
	s_waitcnt lgkmcnt(0)
	v_mov_b32_dpp v6, v0 row_shr:1 row_mask:0xf bank_mask:0xf
	v_add_co_u32_e64 v6, s[2:3], v0, v6
	v_addc_co_u32_e64 v9, s[2:3], 0, v1, s[2:3]
	v_mov_b32_dpp v7, v1 row_shr:1 row_mask:0xf bank_mask:0xf
	v_add_co_u32_e64 v10, s[2:3], 0, v6
	v_addc_co_u32_e64 v7, s[2:3], v7, v9, s[2:3]
	v_cmp_eq_u32_e64 s[2:3], 0, v5
	v_cndmask_b32_e64 v6, v6, v0, s[2:3]
	v_cndmask_b32_e64 v9, v7, v1, s[2:3]
	s_nop 0
	v_mov_b32_dpp v6, v6 row_shr:2 row_mask:0xf bank_mask:0xf
	v_mov_b32_dpp v9, v9 row_shr:2 row_mask:0xf bank_mask:0xf
	v_cndmask_b32_e64 v5, 0, v6, s[4:5]
	v_cndmask_b32_e64 v6, 0, v9, s[4:5]
	v_add_co_u32_e64 v5, s[4:5], v5, v10
	v_addc_co_u32_e64 v6, s[4:5], v6, v7, s[4:5]
	v_cndmask_b32_e64 v1, v6, v1, s[2:3]
	v_cndmask_b32_e64 v0, v5, v0, s[2:3]
	ds_write_b64 v4, v[0:1]
.LBB29_339:
	s_or_b64 exec, exec, s[6:7]
	v_cmp_lt_u32_e64 s[2:3], 63, v18
	v_pk_mov_b32 v[0:1], 0, 0
	s_waitcnt lgkmcnt(0)
	s_barrier
	s_and_saveexec_b64 s[4:5], s[2:3]
	s_cbranch_execz .LBB29_341
; %bb.340:
	v_lshl_add_u32 v0, v3, 3, -8
	ds_read_b64 v[0:1], v0
.LBB29_341:
	s_or_b64 exec, exec, s[4:5]
	v_add_u32_e32 v3, -1, v2
	v_and_b32_e32 v4, 64, v2
	v_cmp_lt_i32_e64 s[2:3], v3, v4
	v_cndmask_b32_e64 v2, v3, v2, s[2:3]
	s_waitcnt lgkmcnt(0)
	v_add_u32_e32 v1, v0, v8
	v_lshlrev_b32_e32 v2, 2, v2
	ds_bpermute_b32 v1, v2, v1
	v_mov_b32_e32 v3, 0
	s_waitcnt lgkmcnt(0)
	v_cndmask_b32_e32 v4, v1, v0, vcc
	s_and_saveexec_b64 s[2:3], s[0:1]
	s_cbranch_execz .LBB29_343
; %bb.342:
	s_add_u32 s0, s12, 0x400
	s_addc_u32 s1, s13, 0
	ds_read_b64 v[0:1], v3 offset:24
	v_mov_b32_e32 v2, 2
	v_pk_mov_b32 v[6:7], s[0:1], s[0:1] op_sel:[0,1]
	s_waitcnt lgkmcnt(0)
	;;#ASMSTART
	global_store_dwordx4 v[6:7], v[0:3] off	
s_waitcnt vmcnt(0)
	;;#ASMEND
.LBB29_343:
	s_or_b64 exec, exec, s[2:3]
	v_pk_mov_b32 v[0:1], 0, 0
.LBB29_344:
	s_xor_b64 s[0:1], s[8:9], -1
	s_xor_b64 s[2:3], s[10:11], -1
	;; [unrolled: 1-line block ×5, first 2 shown]
	v_sub_u32_e32 v0, v4, v0
	s_barrier
	s_and_saveexec_b64 s[10:11], s[20:21]
	s_cbranch_execnz .LBB29_372
; %bb.345:
	s_or_b64 exec, exec, s[10:11]
	s_and_saveexec_b64 s[10:11], s[8:9]
	s_cbranch_execnz .LBB29_373
.LBB29_346:
	s_or_b64 exec, exec, s[10:11]
	s_and_saveexec_b64 s[8:9], s[6:7]
	s_cbranch_execnz .LBB29_374
.LBB29_347:
	s_or_b64 exec, exec, s[8:9]
	s_and_saveexec_b64 s[6:7], s[4:5]
	s_cbranch_execnz .LBB29_375
.LBB29_348:
	s_or_b64 exec, exec, s[6:7]
	s_and_saveexec_b64 s[4:5], s[2:3]
	s_cbranch_execnz .LBB29_376
.LBB29_349:
	s_or_b64 exec, exec, s[4:5]
	s_and_saveexec_b64 s[2:3], s[0:1]
	s_cbranch_execz .LBB29_351
.LBB29_350:
	v_lshlrev_b32_e32 v1, 2, v0
	v_add_u32_e32 v0, 1, v0
	ds_write_b32 v1, v26 offset:1024
.LBB29_351:
	s_or_b64 exec, exec, s[2:3]
	v_and_b32_e32 v1, 64, v41
	v_cmp_ne_u32_e32 vcc, 0, v1
	s_and_saveexec_b64 s[0:1], vcc
	s_cbranch_execz .LBB29_353
; %bb.352:
	v_lshlrev_b32_e32 v1, 2, v0
	v_add_u32_e32 v0, 1, v0
	ds_write_b32 v1, v27 offset:1024
.LBB29_353:
	s_or_b64 exec, exec, s[0:1]
	v_and_b32_e32 v1, 0x80, v40
	v_cmp_ne_u32_e32 vcc, 0, v1
	s_and_saveexec_b64 s[0:1], vcc
	s_cbranch_execz .LBB29_355
; %bb.354:
	v_lshlrev_b32_e32 v1, 2, v0
	v_add_u32_e32 v0, 1, v0
	ds_write_b32 v1, v28 offset:1024
.LBB29_355:
	;; [unrolled: 10-line block ×9, first 2 shown]
	s_or_b64 exec, exec, s[0:1]
	v_and_b32_e32 v1, 0x8000, v19
	v_cmp_ne_u32_e32 vcc, 0, v1
	s_and_saveexec_b64 s[0:1], vcc
	s_cbranch_execz .LBB29_371
; %bb.370:
	v_lshlrev_b32_e32 v0, 2, v0
	ds_write_b32 v0, v36 offset:1024
.LBB29_371:
	s_or_b64 exec, exec, s[0:1]
	s_waitcnt lgkmcnt(0)
	s_barrier
	s_endpgm
.LBB29_372:
	v_lshlrev_b32_e32 v1, 2, v0
	v_add_u32_e32 v0, 1, v0
	ds_write_b32 v1, v21 offset:1024
	s_or_b64 exec, exec, s[10:11]
	s_and_saveexec_b64 s[10:11], s[8:9]
	s_cbranch_execz .LBB29_346
.LBB29_373:
	v_lshlrev_b32_e32 v1, 2, v0
	v_add_u32_e32 v0, 1, v0
	ds_write_b32 v1, v20 offset:1024
	s_or_b64 exec, exec, s[10:11]
	s_and_saveexec_b64 s[8:9], s[6:7]
	s_cbranch_execz .LBB29_347
.LBB29_374:
	v_lshlrev_b32_e32 v1, 2, v0
	v_add_u32_e32 v0, 1, v0
	ds_write_b32 v1, v22 offset:1024
	s_or_b64 exec, exec, s[8:9]
	s_and_saveexec_b64 s[6:7], s[4:5]
	s_cbranch_execz .LBB29_348
.LBB29_375:
	v_lshlrev_b32_e32 v1, 2, v0
	v_add_u32_e32 v0, 1, v0
	ds_write_b32 v1, v23 offset:1024
	s_or_b64 exec, exec, s[6:7]
	s_and_saveexec_b64 s[4:5], s[2:3]
	s_cbranch_execz .LBB29_349
.LBB29_376:
	v_lshlrev_b32_e32 v1, 2, v0
	v_add_u32_e32 v0, 1, v0
	ds_write_b32 v1, v24 offset:1024
	s_or_b64 exec, exec, s[4:5]
	s_and_saveexec_b64 s[2:3], s[0:1]
	s_cbranch_execnz .LBB29_350
	s_branch .LBB29_351
	.section	.rodata,"a",@progbits
	.p2align	6, 0x0
	.amdhsa_kernel _ZN6thrust23THRUST_200600_302600_NS11hip_rocprim16__set_operations22lookback_set_op_kernelIN7rocprim17ROCPRIM_400000_NS13kernel_configILj256ELj16ELj4294967295EEELb0ENS0_6detail15normal_iteratorINS0_10device_ptrIKiEEEESD_PiSE_lNS0_16discard_iteratorINS0_11use_defaultEEESE_NS0_4lessIiEENS2_23serial_set_intersectionENS5_6detail19lookback_scan_stateIlLb0ELb1EEEEEvT1_T2_T3_T4_T6_T7_T8_T9_PNS0_4pairIT5_SX_EEPSX_T10_NSL_16ordered_block_idIjEE
		.amdhsa_group_segment_fixed_size 36868
		.amdhsa_private_segment_fixed_size 0
		.amdhsa_kernarg_size 352
		.amdhsa_user_sgpr_count 6
		.amdhsa_user_sgpr_private_segment_buffer 1
		.amdhsa_user_sgpr_dispatch_ptr 0
		.amdhsa_user_sgpr_queue_ptr 0
		.amdhsa_user_sgpr_kernarg_segment_ptr 1
		.amdhsa_user_sgpr_dispatch_id 0
		.amdhsa_user_sgpr_flat_scratch_init 0
		.amdhsa_user_sgpr_kernarg_preload_length 0
		.amdhsa_user_sgpr_kernarg_preload_offset 0
		.amdhsa_user_sgpr_private_segment_size 0
		.amdhsa_uses_dynamic_stack 0
		.amdhsa_system_sgpr_private_segment_wavefront_offset 0
		.amdhsa_system_sgpr_workgroup_id_x 1
		.amdhsa_system_sgpr_workgroup_id_y 0
		.amdhsa_system_sgpr_workgroup_id_z 0
		.amdhsa_system_sgpr_workgroup_info 0
		.amdhsa_system_vgpr_workitem_id 2
		.amdhsa_next_free_vgpr 73
		.amdhsa_next_free_sgpr 30
		.amdhsa_accum_offset 76
		.amdhsa_reserve_vcc 1
		.amdhsa_reserve_flat_scratch 0
		.amdhsa_float_round_mode_32 0
		.amdhsa_float_round_mode_16_64 0
		.amdhsa_float_denorm_mode_32 3
		.amdhsa_float_denorm_mode_16_64 3
		.amdhsa_dx10_clamp 1
		.amdhsa_ieee_mode 1
		.amdhsa_fp16_overflow 0
		.amdhsa_tg_split 0
		.amdhsa_exception_fp_ieee_invalid_op 0
		.amdhsa_exception_fp_denorm_src 0
		.amdhsa_exception_fp_ieee_div_zero 0
		.amdhsa_exception_fp_ieee_overflow 0
		.amdhsa_exception_fp_ieee_underflow 0
		.amdhsa_exception_fp_ieee_inexact 0
		.amdhsa_exception_int_div_zero 0
	.end_amdhsa_kernel
	.section	.text._ZN6thrust23THRUST_200600_302600_NS11hip_rocprim16__set_operations22lookback_set_op_kernelIN7rocprim17ROCPRIM_400000_NS13kernel_configILj256ELj16ELj4294967295EEELb0ENS0_6detail15normal_iteratorINS0_10device_ptrIKiEEEESD_PiSE_lNS0_16discard_iteratorINS0_11use_defaultEEESE_NS0_4lessIiEENS2_23serial_set_intersectionENS5_6detail19lookback_scan_stateIlLb0ELb1EEEEEvT1_T2_T3_T4_T6_T7_T8_T9_PNS0_4pairIT5_SX_EEPSX_T10_NSL_16ordered_block_idIjEE,"axG",@progbits,_ZN6thrust23THRUST_200600_302600_NS11hip_rocprim16__set_operations22lookback_set_op_kernelIN7rocprim17ROCPRIM_400000_NS13kernel_configILj256ELj16ELj4294967295EEELb0ENS0_6detail15normal_iteratorINS0_10device_ptrIKiEEEESD_PiSE_lNS0_16discard_iteratorINS0_11use_defaultEEESE_NS0_4lessIiEENS2_23serial_set_intersectionENS5_6detail19lookback_scan_stateIlLb0ELb1EEEEEvT1_T2_T3_T4_T6_T7_T8_T9_PNS0_4pairIT5_SX_EEPSX_T10_NSL_16ordered_block_idIjEE,comdat
.Lfunc_end29:
	.size	_ZN6thrust23THRUST_200600_302600_NS11hip_rocprim16__set_operations22lookback_set_op_kernelIN7rocprim17ROCPRIM_400000_NS13kernel_configILj256ELj16ELj4294967295EEELb0ENS0_6detail15normal_iteratorINS0_10device_ptrIKiEEEESD_PiSE_lNS0_16discard_iteratorINS0_11use_defaultEEESE_NS0_4lessIiEENS2_23serial_set_intersectionENS5_6detail19lookback_scan_stateIlLb0ELb1EEEEEvT1_T2_T3_T4_T6_T7_T8_T9_PNS0_4pairIT5_SX_EEPSX_T10_NSL_16ordered_block_idIjEE, .Lfunc_end29-_ZN6thrust23THRUST_200600_302600_NS11hip_rocprim16__set_operations22lookback_set_op_kernelIN7rocprim17ROCPRIM_400000_NS13kernel_configILj256ELj16ELj4294967295EEELb0ENS0_6detail15normal_iteratorINS0_10device_ptrIKiEEEESD_PiSE_lNS0_16discard_iteratorINS0_11use_defaultEEESE_NS0_4lessIiEENS2_23serial_set_intersectionENS5_6detail19lookback_scan_stateIlLb0ELb1EEEEEvT1_T2_T3_T4_T6_T7_T8_T9_PNS0_4pairIT5_SX_EEPSX_T10_NSL_16ordered_block_idIjEE
                                        ; -- End function
	.section	.AMDGPU.csdata,"",@progbits
; Kernel info:
; codeLenInByte = 17164
; NumSgprs: 34
; NumVgprs: 73
; NumAgprs: 0
; TotalNumVgprs: 73
; ScratchSize: 0
; MemoryBound: 0
; FloatMode: 240
; IeeeMode: 1
; LDSByteSize: 36868 bytes/workgroup (compile time only)
; SGPRBlocks: 4
; VGPRBlocks: 9
; NumSGPRsForWavesPerEU: 34
; NumVGPRsForWavesPerEU: 73
; AccumOffset: 76
; Occupancy: 1
; WaveLimiterHint : 1
; COMPUTE_PGM_RSRC2:SCRATCH_EN: 0
; COMPUTE_PGM_RSRC2:USER_SGPR: 6
; COMPUTE_PGM_RSRC2:TRAP_HANDLER: 0
; COMPUTE_PGM_RSRC2:TGID_X_EN: 1
; COMPUTE_PGM_RSRC2:TGID_Y_EN: 0
; COMPUTE_PGM_RSRC2:TGID_Z_EN: 0
; COMPUTE_PGM_RSRC2:TIDIG_COMP_CNT: 2
; COMPUTE_PGM_RSRC3_GFX90A:ACCUM_OFFSET: 18
; COMPUTE_PGM_RSRC3_GFX90A:TG_SPLIT: 0
	.text
	.p2alignl 6, 3212836864
	.fill 256, 4, 3212836864
	.type	__hip_cuid_3a460343a0235260,@object ; @__hip_cuid_3a460343a0235260
	.section	.bss,"aw",@nobits
	.globl	__hip_cuid_3a460343a0235260
__hip_cuid_3a460343a0235260:
	.byte	0                               ; 0x0
	.size	__hip_cuid_3a460343a0235260, 1

	.ident	"AMD clang version 19.0.0git (https://github.com/RadeonOpenCompute/llvm-project roc-6.4.0 25133 c7fe45cf4b819c5991fe208aaa96edf142730f1d)"
	.section	".note.GNU-stack","",@progbits
	.addrsig
	.addrsig_sym __hip_cuid_3a460343a0235260
	.amdgpu_metadata
---
amdhsa.kernels:
  - .agpr_count:     0
    .args:
      - .offset:         0
        .size:           16
        .value_kind:     by_value
      - .offset:         16
        .size:           8
        .value_kind:     by_value
      - .offset:         24
        .size:           8
        .value_kind:     by_value
    .group_segment_fixed_size: 0
    .kernarg_segment_align: 8
    .kernarg_segment_size: 32
    .language:       OpenCL C
    .language_version:
      - 2
      - 0
    .max_flat_workgroup_size: 256
    .name:           _ZN6thrust23THRUST_200600_302600_NS11hip_rocprim14__parallel_for6kernelILj256ENS1_20__uninitialized_fill7functorINS0_10device_ptrIiEEiEEmLj1EEEvT0_T1_SA_
    .private_segment_fixed_size: 0
    .sgpr_count:     16
    .sgpr_spill_count: 0
    .symbol:         _ZN6thrust23THRUST_200600_302600_NS11hip_rocprim14__parallel_for6kernelILj256ENS1_20__uninitialized_fill7functorINS0_10device_ptrIiEEiEEmLj1EEEvT0_T1_SA_.kd
    .uniform_work_group_size: 1
    .uses_dynamic_stack: false
    .vgpr_count:     4
    .vgpr_spill_count: 0
    .wavefront_size: 64
  - .agpr_count:     0
    .args:
      - .offset:         0
        .size:           48
        .value_kind:     by_value
    .group_segment_fixed_size: 0
    .kernarg_segment_align: 8
    .kernarg_segment_size: 48
    .language:       OpenCL C
    .language_version:
      - 2
      - 0
    .max_flat_workgroup_size: 256
    .name:           _ZN7rocprim17ROCPRIM_400000_NS6detail17trampoline_kernelINS0_14default_configENS1_21merge_config_selectorIiNS0_10empty_typeEEEZNS1_10merge_implIS3_N6thrust23THRUST_200600_302600_NS6detail15normal_iteratorINS9_10device_ptrIKiEEEESF_NSB_INSC_IiEEEEPS5_SI_SI_NS9_4lessIiEEEE10hipError_tPvRmT0_T1_T2_T3_T4_T5_mmT6_P12ihipStream_tbEUlT_E_NS1_11comp_targetILNS1_3genE0ELNS1_11target_archE4294967295ELNS1_3gpuE0ELNS1_3repE0EEENS1_30default_config_static_selectorELNS0_4arch9wavefront6targetE1EEEvSP_
    .private_segment_fixed_size: 0
    .sgpr_count:     4
    .sgpr_spill_count: 0
    .symbol:         _ZN7rocprim17ROCPRIM_400000_NS6detail17trampoline_kernelINS0_14default_configENS1_21merge_config_selectorIiNS0_10empty_typeEEEZNS1_10merge_implIS3_N6thrust23THRUST_200600_302600_NS6detail15normal_iteratorINS9_10device_ptrIKiEEEESF_NSB_INSC_IiEEEEPS5_SI_SI_NS9_4lessIiEEEE10hipError_tPvRmT0_T1_T2_T3_T4_T5_mmT6_P12ihipStream_tbEUlT_E_NS1_11comp_targetILNS1_3genE0ELNS1_11target_archE4294967295ELNS1_3gpuE0ELNS1_3repE0EEENS1_30default_config_static_selectorELNS0_4arch9wavefront6targetE1EEEvSP_.kd
    .uniform_work_group_size: 1
    .uses_dynamic_stack: false
    .vgpr_count:     0
    .vgpr_spill_count: 0
    .wavefront_size: 64
  - .agpr_count:     0
    .args:
      - .offset:         0
        .size:           48
        .value_kind:     by_value
    .group_segment_fixed_size: 0
    .kernarg_segment_align: 8
    .kernarg_segment_size: 48
    .language:       OpenCL C
    .language_version:
      - 2
      - 0
    .max_flat_workgroup_size: 256
    .name:           _ZN7rocprim17ROCPRIM_400000_NS6detail17trampoline_kernelINS0_14default_configENS1_21merge_config_selectorIiNS0_10empty_typeEEEZNS1_10merge_implIS3_N6thrust23THRUST_200600_302600_NS6detail15normal_iteratorINS9_10device_ptrIKiEEEESF_NSB_INSC_IiEEEEPS5_SI_SI_NS9_4lessIiEEEE10hipError_tPvRmT0_T1_T2_T3_T4_T5_mmT6_P12ihipStream_tbEUlT_E_NS1_11comp_targetILNS1_3genE5ELNS1_11target_archE942ELNS1_3gpuE9ELNS1_3repE0EEENS1_30default_config_static_selectorELNS0_4arch9wavefront6targetE1EEEvSP_
    .private_segment_fixed_size: 0
    .sgpr_count:     4
    .sgpr_spill_count: 0
    .symbol:         _ZN7rocprim17ROCPRIM_400000_NS6detail17trampoline_kernelINS0_14default_configENS1_21merge_config_selectorIiNS0_10empty_typeEEEZNS1_10merge_implIS3_N6thrust23THRUST_200600_302600_NS6detail15normal_iteratorINS9_10device_ptrIKiEEEESF_NSB_INSC_IiEEEEPS5_SI_SI_NS9_4lessIiEEEE10hipError_tPvRmT0_T1_T2_T3_T4_T5_mmT6_P12ihipStream_tbEUlT_E_NS1_11comp_targetILNS1_3genE5ELNS1_11target_archE942ELNS1_3gpuE9ELNS1_3repE0EEENS1_30default_config_static_selectorELNS0_4arch9wavefront6targetE1EEEvSP_.kd
    .uniform_work_group_size: 1
    .uses_dynamic_stack: false
    .vgpr_count:     0
    .vgpr_spill_count: 0
    .wavefront_size: 64
  - .agpr_count:     0
    .args:
      - .offset:         0
        .size:           48
        .value_kind:     by_value
      - .offset:         48
        .size:           4
        .value_kind:     hidden_block_count_x
      - .offset:         52
        .size:           4
        .value_kind:     hidden_block_count_y
      - .offset:         56
        .size:           4
        .value_kind:     hidden_block_count_z
      - .offset:         60
        .size:           2
        .value_kind:     hidden_group_size_x
      - .offset:         62
        .size:           2
        .value_kind:     hidden_group_size_y
      - .offset:         64
        .size:           2
        .value_kind:     hidden_group_size_z
      - .offset:         66
        .size:           2
        .value_kind:     hidden_remainder_x
      - .offset:         68
        .size:           2
        .value_kind:     hidden_remainder_y
      - .offset:         70
        .size:           2
        .value_kind:     hidden_remainder_z
      - .offset:         88
        .size:           8
        .value_kind:     hidden_global_offset_x
      - .offset:         96
        .size:           8
        .value_kind:     hidden_global_offset_y
      - .offset:         104
        .size:           8
        .value_kind:     hidden_global_offset_z
      - .offset:         112
        .size:           2
        .value_kind:     hidden_grid_dims
    .group_segment_fixed_size: 0
    .kernarg_segment_align: 8
    .kernarg_segment_size: 304
    .language:       OpenCL C
    .language_version:
      - 2
      - 0
    .max_flat_workgroup_size: 256
    .name:           _ZN7rocprim17ROCPRIM_400000_NS6detail17trampoline_kernelINS0_14default_configENS1_21merge_config_selectorIiNS0_10empty_typeEEEZNS1_10merge_implIS3_N6thrust23THRUST_200600_302600_NS6detail15normal_iteratorINS9_10device_ptrIKiEEEESF_NSB_INSC_IiEEEEPS5_SI_SI_NS9_4lessIiEEEE10hipError_tPvRmT0_T1_T2_T3_T4_T5_mmT6_P12ihipStream_tbEUlT_E_NS1_11comp_targetILNS1_3genE4ELNS1_11target_archE910ELNS1_3gpuE8ELNS1_3repE0EEENS1_30default_config_static_selectorELNS0_4arch9wavefront6targetE1EEEvSP_
    .private_segment_fixed_size: 0
    .sgpr_count:     18
    .sgpr_spill_count: 0
    .symbol:         _ZN7rocprim17ROCPRIM_400000_NS6detail17trampoline_kernelINS0_14default_configENS1_21merge_config_selectorIiNS0_10empty_typeEEEZNS1_10merge_implIS3_N6thrust23THRUST_200600_302600_NS6detail15normal_iteratorINS9_10device_ptrIKiEEEESF_NSB_INSC_IiEEEEPS5_SI_SI_NS9_4lessIiEEEE10hipError_tPvRmT0_T1_T2_T3_T4_T5_mmT6_P12ihipStream_tbEUlT_E_NS1_11comp_targetILNS1_3genE4ELNS1_11target_archE910ELNS1_3gpuE8ELNS1_3repE0EEENS1_30default_config_static_selectorELNS0_4arch9wavefront6targetE1EEEvSP_.kd
    .uniform_work_group_size: 1
    .uses_dynamic_stack: false
    .vgpr_count:     14
    .vgpr_spill_count: 0
    .wavefront_size: 64
  - .agpr_count:     0
    .args:
      - .offset:         0
        .size:           48
        .value_kind:     by_value
    .group_segment_fixed_size: 0
    .kernarg_segment_align: 8
    .kernarg_segment_size: 48
    .language:       OpenCL C
    .language_version:
      - 2
      - 0
    .max_flat_workgroup_size: 256
    .name:           _ZN7rocprim17ROCPRIM_400000_NS6detail17trampoline_kernelINS0_14default_configENS1_21merge_config_selectorIiNS0_10empty_typeEEEZNS1_10merge_implIS3_N6thrust23THRUST_200600_302600_NS6detail15normal_iteratorINS9_10device_ptrIKiEEEESF_NSB_INSC_IiEEEEPS5_SI_SI_NS9_4lessIiEEEE10hipError_tPvRmT0_T1_T2_T3_T4_T5_mmT6_P12ihipStream_tbEUlT_E_NS1_11comp_targetILNS1_3genE3ELNS1_11target_archE908ELNS1_3gpuE7ELNS1_3repE0EEENS1_30default_config_static_selectorELNS0_4arch9wavefront6targetE1EEEvSP_
    .private_segment_fixed_size: 0
    .sgpr_count:     4
    .sgpr_spill_count: 0
    .symbol:         _ZN7rocprim17ROCPRIM_400000_NS6detail17trampoline_kernelINS0_14default_configENS1_21merge_config_selectorIiNS0_10empty_typeEEEZNS1_10merge_implIS3_N6thrust23THRUST_200600_302600_NS6detail15normal_iteratorINS9_10device_ptrIKiEEEESF_NSB_INSC_IiEEEEPS5_SI_SI_NS9_4lessIiEEEE10hipError_tPvRmT0_T1_T2_T3_T4_T5_mmT6_P12ihipStream_tbEUlT_E_NS1_11comp_targetILNS1_3genE3ELNS1_11target_archE908ELNS1_3gpuE7ELNS1_3repE0EEENS1_30default_config_static_selectorELNS0_4arch9wavefront6targetE1EEEvSP_.kd
    .uniform_work_group_size: 1
    .uses_dynamic_stack: false
    .vgpr_count:     0
    .vgpr_spill_count: 0
    .wavefront_size: 64
  - .agpr_count:     0
    .args:
      - .offset:         0
        .size:           48
        .value_kind:     by_value
    .group_segment_fixed_size: 0
    .kernarg_segment_align: 8
    .kernarg_segment_size: 48
    .language:       OpenCL C
    .language_version:
      - 2
      - 0
    .max_flat_workgroup_size: 256
    .name:           _ZN7rocprim17ROCPRIM_400000_NS6detail17trampoline_kernelINS0_14default_configENS1_21merge_config_selectorIiNS0_10empty_typeEEEZNS1_10merge_implIS3_N6thrust23THRUST_200600_302600_NS6detail15normal_iteratorINS9_10device_ptrIKiEEEESF_NSB_INSC_IiEEEEPS5_SI_SI_NS9_4lessIiEEEE10hipError_tPvRmT0_T1_T2_T3_T4_T5_mmT6_P12ihipStream_tbEUlT_E_NS1_11comp_targetILNS1_3genE2ELNS1_11target_archE906ELNS1_3gpuE6ELNS1_3repE0EEENS1_30default_config_static_selectorELNS0_4arch9wavefront6targetE1EEEvSP_
    .private_segment_fixed_size: 0
    .sgpr_count:     4
    .sgpr_spill_count: 0
    .symbol:         _ZN7rocprim17ROCPRIM_400000_NS6detail17trampoline_kernelINS0_14default_configENS1_21merge_config_selectorIiNS0_10empty_typeEEEZNS1_10merge_implIS3_N6thrust23THRUST_200600_302600_NS6detail15normal_iteratorINS9_10device_ptrIKiEEEESF_NSB_INSC_IiEEEEPS5_SI_SI_NS9_4lessIiEEEE10hipError_tPvRmT0_T1_T2_T3_T4_T5_mmT6_P12ihipStream_tbEUlT_E_NS1_11comp_targetILNS1_3genE2ELNS1_11target_archE906ELNS1_3gpuE6ELNS1_3repE0EEENS1_30default_config_static_selectorELNS0_4arch9wavefront6targetE1EEEvSP_.kd
    .uniform_work_group_size: 1
    .uses_dynamic_stack: false
    .vgpr_count:     0
    .vgpr_spill_count: 0
    .wavefront_size: 64
  - .agpr_count:     0
    .args:
      - .offset:         0
        .size:           48
        .value_kind:     by_value
    .group_segment_fixed_size: 0
    .kernarg_segment_align: 8
    .kernarg_segment_size: 48
    .language:       OpenCL C
    .language_version:
      - 2
      - 0
    .max_flat_workgroup_size: 1024
    .name:           _ZN7rocprim17ROCPRIM_400000_NS6detail17trampoline_kernelINS0_14default_configENS1_21merge_config_selectorIiNS0_10empty_typeEEEZNS1_10merge_implIS3_N6thrust23THRUST_200600_302600_NS6detail15normal_iteratorINS9_10device_ptrIKiEEEESF_NSB_INSC_IiEEEEPS5_SI_SI_NS9_4lessIiEEEE10hipError_tPvRmT0_T1_T2_T3_T4_T5_mmT6_P12ihipStream_tbEUlT_E_NS1_11comp_targetILNS1_3genE10ELNS1_11target_archE1201ELNS1_3gpuE5ELNS1_3repE0EEENS1_30default_config_static_selectorELNS0_4arch9wavefront6targetE1EEEvSP_
    .private_segment_fixed_size: 0
    .sgpr_count:     4
    .sgpr_spill_count: 0
    .symbol:         _ZN7rocprim17ROCPRIM_400000_NS6detail17trampoline_kernelINS0_14default_configENS1_21merge_config_selectorIiNS0_10empty_typeEEEZNS1_10merge_implIS3_N6thrust23THRUST_200600_302600_NS6detail15normal_iteratorINS9_10device_ptrIKiEEEESF_NSB_INSC_IiEEEEPS5_SI_SI_NS9_4lessIiEEEE10hipError_tPvRmT0_T1_T2_T3_T4_T5_mmT6_P12ihipStream_tbEUlT_E_NS1_11comp_targetILNS1_3genE10ELNS1_11target_archE1201ELNS1_3gpuE5ELNS1_3repE0EEENS1_30default_config_static_selectorELNS0_4arch9wavefront6targetE1EEEvSP_.kd
    .uniform_work_group_size: 1
    .uses_dynamic_stack: false
    .vgpr_count:     0
    .vgpr_spill_count: 0
    .wavefront_size: 64
  - .agpr_count:     0
    .args:
      - .offset:         0
        .size:           48
        .value_kind:     by_value
    .group_segment_fixed_size: 0
    .kernarg_segment_align: 8
    .kernarg_segment_size: 48
    .language:       OpenCL C
    .language_version:
      - 2
      - 0
    .max_flat_workgroup_size: 1024
    .name:           _ZN7rocprim17ROCPRIM_400000_NS6detail17trampoline_kernelINS0_14default_configENS1_21merge_config_selectorIiNS0_10empty_typeEEEZNS1_10merge_implIS3_N6thrust23THRUST_200600_302600_NS6detail15normal_iteratorINS9_10device_ptrIKiEEEESF_NSB_INSC_IiEEEEPS5_SI_SI_NS9_4lessIiEEEE10hipError_tPvRmT0_T1_T2_T3_T4_T5_mmT6_P12ihipStream_tbEUlT_E_NS1_11comp_targetILNS1_3genE10ELNS1_11target_archE1200ELNS1_3gpuE4ELNS1_3repE0EEENS1_30default_config_static_selectorELNS0_4arch9wavefront6targetE1EEEvSP_
    .private_segment_fixed_size: 0
    .sgpr_count:     4
    .sgpr_spill_count: 0
    .symbol:         _ZN7rocprim17ROCPRIM_400000_NS6detail17trampoline_kernelINS0_14default_configENS1_21merge_config_selectorIiNS0_10empty_typeEEEZNS1_10merge_implIS3_N6thrust23THRUST_200600_302600_NS6detail15normal_iteratorINS9_10device_ptrIKiEEEESF_NSB_INSC_IiEEEEPS5_SI_SI_NS9_4lessIiEEEE10hipError_tPvRmT0_T1_T2_T3_T4_T5_mmT6_P12ihipStream_tbEUlT_E_NS1_11comp_targetILNS1_3genE10ELNS1_11target_archE1200ELNS1_3gpuE4ELNS1_3repE0EEENS1_30default_config_static_selectorELNS0_4arch9wavefront6targetE1EEEvSP_.kd
    .uniform_work_group_size: 1
    .uses_dynamic_stack: false
    .vgpr_count:     0
    .vgpr_spill_count: 0
    .wavefront_size: 64
  - .agpr_count:     0
    .args:
      - .offset:         0
        .size:           48
        .value_kind:     by_value
    .group_segment_fixed_size: 0
    .kernarg_segment_align: 8
    .kernarg_segment_size: 48
    .language:       OpenCL C
    .language_version:
      - 2
      - 0
    .max_flat_workgroup_size: 1024
    .name:           _ZN7rocprim17ROCPRIM_400000_NS6detail17trampoline_kernelINS0_14default_configENS1_21merge_config_selectorIiNS0_10empty_typeEEEZNS1_10merge_implIS3_N6thrust23THRUST_200600_302600_NS6detail15normal_iteratorINS9_10device_ptrIKiEEEESF_NSB_INSC_IiEEEEPS5_SI_SI_NS9_4lessIiEEEE10hipError_tPvRmT0_T1_T2_T3_T4_T5_mmT6_P12ihipStream_tbEUlT_E_NS1_11comp_targetILNS1_3genE9ELNS1_11target_archE1100ELNS1_3gpuE3ELNS1_3repE0EEENS1_30default_config_static_selectorELNS0_4arch9wavefront6targetE1EEEvSP_
    .private_segment_fixed_size: 0
    .sgpr_count:     4
    .sgpr_spill_count: 0
    .symbol:         _ZN7rocprim17ROCPRIM_400000_NS6detail17trampoline_kernelINS0_14default_configENS1_21merge_config_selectorIiNS0_10empty_typeEEEZNS1_10merge_implIS3_N6thrust23THRUST_200600_302600_NS6detail15normal_iteratorINS9_10device_ptrIKiEEEESF_NSB_INSC_IiEEEEPS5_SI_SI_NS9_4lessIiEEEE10hipError_tPvRmT0_T1_T2_T3_T4_T5_mmT6_P12ihipStream_tbEUlT_E_NS1_11comp_targetILNS1_3genE9ELNS1_11target_archE1100ELNS1_3gpuE3ELNS1_3repE0EEENS1_30default_config_static_selectorELNS0_4arch9wavefront6targetE1EEEvSP_.kd
    .uniform_work_group_size: 1
    .uses_dynamic_stack: false
    .vgpr_count:     0
    .vgpr_spill_count: 0
    .wavefront_size: 64
  - .agpr_count:     0
    .args:
      - .offset:         0
        .size:           48
        .value_kind:     by_value
    .group_segment_fixed_size: 0
    .kernarg_segment_align: 8
    .kernarg_segment_size: 48
    .language:       OpenCL C
    .language_version:
      - 2
      - 0
    .max_flat_workgroup_size: 1024
    .name:           _ZN7rocprim17ROCPRIM_400000_NS6detail17trampoline_kernelINS0_14default_configENS1_21merge_config_selectorIiNS0_10empty_typeEEEZNS1_10merge_implIS3_N6thrust23THRUST_200600_302600_NS6detail15normal_iteratorINS9_10device_ptrIKiEEEESF_NSB_INSC_IiEEEEPS5_SI_SI_NS9_4lessIiEEEE10hipError_tPvRmT0_T1_T2_T3_T4_T5_mmT6_P12ihipStream_tbEUlT_E_NS1_11comp_targetILNS1_3genE8ELNS1_11target_archE1030ELNS1_3gpuE2ELNS1_3repE0EEENS1_30default_config_static_selectorELNS0_4arch9wavefront6targetE1EEEvSP_
    .private_segment_fixed_size: 0
    .sgpr_count:     4
    .sgpr_spill_count: 0
    .symbol:         _ZN7rocprim17ROCPRIM_400000_NS6detail17trampoline_kernelINS0_14default_configENS1_21merge_config_selectorIiNS0_10empty_typeEEEZNS1_10merge_implIS3_N6thrust23THRUST_200600_302600_NS6detail15normal_iteratorINS9_10device_ptrIKiEEEESF_NSB_INSC_IiEEEEPS5_SI_SI_NS9_4lessIiEEEE10hipError_tPvRmT0_T1_T2_T3_T4_T5_mmT6_P12ihipStream_tbEUlT_E_NS1_11comp_targetILNS1_3genE8ELNS1_11target_archE1030ELNS1_3gpuE2ELNS1_3repE0EEENS1_30default_config_static_selectorELNS0_4arch9wavefront6targetE1EEEvSP_.kd
    .uniform_work_group_size: 1
    .uses_dynamic_stack: false
    .vgpr_count:     0
    .vgpr_spill_count: 0
    .wavefront_size: 64
  - .agpr_count:     0
    .args:
      - .offset:         0
        .size:           88
        .value_kind:     by_value
    .group_segment_fixed_size: 0
    .kernarg_segment_align: 8
    .kernarg_segment_size: 88
    .language:       OpenCL C
    .language_version:
      - 2
      - 0
    .max_flat_workgroup_size: 256
    .name:           _ZN7rocprim17ROCPRIM_400000_NS6detail17trampoline_kernelINS0_14default_configENS1_21merge_config_selectorIiNS0_10empty_typeEEEZNS1_10merge_implIS3_N6thrust23THRUST_200600_302600_NS6detail15normal_iteratorINS9_10device_ptrIKiEEEESF_NSB_INSC_IiEEEEPS5_SI_SI_NS9_4lessIiEEEE10hipError_tPvRmT0_T1_T2_T3_T4_T5_mmT6_P12ihipStream_tbEUlT_E0_NS1_11comp_targetILNS1_3genE0ELNS1_11target_archE4294967295ELNS1_3gpuE0ELNS1_3repE0EEENS1_30default_config_static_selectorELNS0_4arch9wavefront6targetE1EEEvSP_
    .private_segment_fixed_size: 0
    .sgpr_count:     4
    .sgpr_spill_count: 0
    .symbol:         _ZN7rocprim17ROCPRIM_400000_NS6detail17trampoline_kernelINS0_14default_configENS1_21merge_config_selectorIiNS0_10empty_typeEEEZNS1_10merge_implIS3_N6thrust23THRUST_200600_302600_NS6detail15normal_iteratorINS9_10device_ptrIKiEEEESF_NSB_INSC_IiEEEEPS5_SI_SI_NS9_4lessIiEEEE10hipError_tPvRmT0_T1_T2_T3_T4_T5_mmT6_P12ihipStream_tbEUlT_E0_NS1_11comp_targetILNS1_3genE0ELNS1_11target_archE4294967295ELNS1_3gpuE0ELNS1_3repE0EEENS1_30default_config_static_selectorELNS0_4arch9wavefront6targetE1EEEvSP_.kd
    .uniform_work_group_size: 1
    .uses_dynamic_stack: false
    .vgpr_count:     0
    .vgpr_spill_count: 0
    .wavefront_size: 64
  - .agpr_count:     0
    .args:
      - .offset:         0
        .size:           88
        .value_kind:     by_value
    .group_segment_fixed_size: 0
    .kernarg_segment_align: 8
    .kernarg_segment_size: 88
    .language:       OpenCL C
    .language_version:
      - 2
      - 0
    .max_flat_workgroup_size: 256
    .name:           _ZN7rocprim17ROCPRIM_400000_NS6detail17trampoline_kernelINS0_14default_configENS1_21merge_config_selectorIiNS0_10empty_typeEEEZNS1_10merge_implIS3_N6thrust23THRUST_200600_302600_NS6detail15normal_iteratorINS9_10device_ptrIKiEEEESF_NSB_INSC_IiEEEEPS5_SI_SI_NS9_4lessIiEEEE10hipError_tPvRmT0_T1_T2_T3_T4_T5_mmT6_P12ihipStream_tbEUlT_E0_NS1_11comp_targetILNS1_3genE5ELNS1_11target_archE942ELNS1_3gpuE9ELNS1_3repE0EEENS1_30default_config_static_selectorELNS0_4arch9wavefront6targetE1EEEvSP_
    .private_segment_fixed_size: 0
    .sgpr_count:     4
    .sgpr_spill_count: 0
    .symbol:         _ZN7rocprim17ROCPRIM_400000_NS6detail17trampoline_kernelINS0_14default_configENS1_21merge_config_selectorIiNS0_10empty_typeEEEZNS1_10merge_implIS3_N6thrust23THRUST_200600_302600_NS6detail15normal_iteratorINS9_10device_ptrIKiEEEESF_NSB_INSC_IiEEEEPS5_SI_SI_NS9_4lessIiEEEE10hipError_tPvRmT0_T1_T2_T3_T4_T5_mmT6_P12ihipStream_tbEUlT_E0_NS1_11comp_targetILNS1_3genE5ELNS1_11target_archE942ELNS1_3gpuE9ELNS1_3repE0EEENS1_30default_config_static_selectorELNS0_4arch9wavefront6targetE1EEEvSP_.kd
    .uniform_work_group_size: 1
    .uses_dynamic_stack: false
    .vgpr_count:     0
    .vgpr_spill_count: 0
    .wavefront_size: 64
  - .agpr_count:     0
    .args:
      - .offset:         0
        .size:           88
        .value_kind:     by_value
    .group_segment_fixed_size: 10256
    .kernarg_segment_align: 8
    .kernarg_segment_size: 88
    .language:       OpenCL C
    .language_version:
      - 2
      - 0
    .max_flat_workgroup_size: 256
    .name:           _ZN7rocprim17ROCPRIM_400000_NS6detail17trampoline_kernelINS0_14default_configENS1_21merge_config_selectorIiNS0_10empty_typeEEEZNS1_10merge_implIS3_N6thrust23THRUST_200600_302600_NS6detail15normal_iteratorINS9_10device_ptrIKiEEEESF_NSB_INSC_IiEEEEPS5_SI_SI_NS9_4lessIiEEEE10hipError_tPvRmT0_T1_T2_T3_T4_T5_mmT6_P12ihipStream_tbEUlT_E0_NS1_11comp_targetILNS1_3genE4ELNS1_11target_archE910ELNS1_3gpuE8ELNS1_3repE0EEENS1_30default_config_static_selectorELNS0_4arch9wavefront6targetE1EEEvSP_
    .private_segment_fixed_size: 0
    .sgpr_count:     28
    .sgpr_spill_count: 0
    .symbol:         _ZN7rocprim17ROCPRIM_400000_NS6detail17trampoline_kernelINS0_14default_configENS1_21merge_config_selectorIiNS0_10empty_typeEEEZNS1_10merge_implIS3_N6thrust23THRUST_200600_302600_NS6detail15normal_iteratorINS9_10device_ptrIKiEEEESF_NSB_INSC_IiEEEEPS5_SI_SI_NS9_4lessIiEEEE10hipError_tPvRmT0_T1_T2_T3_T4_T5_mmT6_P12ihipStream_tbEUlT_E0_NS1_11comp_targetILNS1_3genE4ELNS1_11target_archE910ELNS1_3gpuE8ELNS1_3repE0EEENS1_30default_config_static_selectorELNS0_4arch9wavefront6targetE1EEEvSP_.kd
    .uniform_work_group_size: 1
    .uses_dynamic_stack: false
    .vgpr_count:     35
    .vgpr_spill_count: 0
    .wavefront_size: 64
  - .agpr_count:     0
    .args:
      - .offset:         0
        .size:           88
        .value_kind:     by_value
    .group_segment_fixed_size: 0
    .kernarg_segment_align: 8
    .kernarg_segment_size: 88
    .language:       OpenCL C
    .language_version:
      - 2
      - 0
    .max_flat_workgroup_size: 256
    .name:           _ZN7rocprim17ROCPRIM_400000_NS6detail17trampoline_kernelINS0_14default_configENS1_21merge_config_selectorIiNS0_10empty_typeEEEZNS1_10merge_implIS3_N6thrust23THRUST_200600_302600_NS6detail15normal_iteratorINS9_10device_ptrIKiEEEESF_NSB_INSC_IiEEEEPS5_SI_SI_NS9_4lessIiEEEE10hipError_tPvRmT0_T1_T2_T3_T4_T5_mmT6_P12ihipStream_tbEUlT_E0_NS1_11comp_targetILNS1_3genE3ELNS1_11target_archE908ELNS1_3gpuE7ELNS1_3repE0EEENS1_30default_config_static_selectorELNS0_4arch9wavefront6targetE1EEEvSP_
    .private_segment_fixed_size: 0
    .sgpr_count:     4
    .sgpr_spill_count: 0
    .symbol:         _ZN7rocprim17ROCPRIM_400000_NS6detail17trampoline_kernelINS0_14default_configENS1_21merge_config_selectorIiNS0_10empty_typeEEEZNS1_10merge_implIS3_N6thrust23THRUST_200600_302600_NS6detail15normal_iteratorINS9_10device_ptrIKiEEEESF_NSB_INSC_IiEEEEPS5_SI_SI_NS9_4lessIiEEEE10hipError_tPvRmT0_T1_T2_T3_T4_T5_mmT6_P12ihipStream_tbEUlT_E0_NS1_11comp_targetILNS1_3genE3ELNS1_11target_archE908ELNS1_3gpuE7ELNS1_3repE0EEENS1_30default_config_static_selectorELNS0_4arch9wavefront6targetE1EEEvSP_.kd
    .uniform_work_group_size: 1
    .uses_dynamic_stack: false
    .vgpr_count:     0
    .vgpr_spill_count: 0
    .wavefront_size: 64
  - .agpr_count:     0
    .args:
      - .offset:         0
        .size:           88
        .value_kind:     by_value
    .group_segment_fixed_size: 0
    .kernarg_segment_align: 8
    .kernarg_segment_size: 88
    .language:       OpenCL C
    .language_version:
      - 2
      - 0
    .max_flat_workgroup_size: 256
    .name:           _ZN7rocprim17ROCPRIM_400000_NS6detail17trampoline_kernelINS0_14default_configENS1_21merge_config_selectorIiNS0_10empty_typeEEEZNS1_10merge_implIS3_N6thrust23THRUST_200600_302600_NS6detail15normal_iteratorINS9_10device_ptrIKiEEEESF_NSB_INSC_IiEEEEPS5_SI_SI_NS9_4lessIiEEEE10hipError_tPvRmT0_T1_T2_T3_T4_T5_mmT6_P12ihipStream_tbEUlT_E0_NS1_11comp_targetILNS1_3genE2ELNS1_11target_archE906ELNS1_3gpuE6ELNS1_3repE0EEENS1_30default_config_static_selectorELNS0_4arch9wavefront6targetE1EEEvSP_
    .private_segment_fixed_size: 0
    .sgpr_count:     4
    .sgpr_spill_count: 0
    .symbol:         _ZN7rocprim17ROCPRIM_400000_NS6detail17trampoline_kernelINS0_14default_configENS1_21merge_config_selectorIiNS0_10empty_typeEEEZNS1_10merge_implIS3_N6thrust23THRUST_200600_302600_NS6detail15normal_iteratorINS9_10device_ptrIKiEEEESF_NSB_INSC_IiEEEEPS5_SI_SI_NS9_4lessIiEEEE10hipError_tPvRmT0_T1_T2_T3_T4_T5_mmT6_P12ihipStream_tbEUlT_E0_NS1_11comp_targetILNS1_3genE2ELNS1_11target_archE906ELNS1_3gpuE6ELNS1_3repE0EEENS1_30default_config_static_selectorELNS0_4arch9wavefront6targetE1EEEvSP_.kd
    .uniform_work_group_size: 1
    .uses_dynamic_stack: false
    .vgpr_count:     0
    .vgpr_spill_count: 0
    .wavefront_size: 64
  - .agpr_count:     0
    .args:
      - .offset:         0
        .size:           88
        .value_kind:     by_value
    .group_segment_fixed_size: 0
    .kernarg_segment_align: 8
    .kernarg_segment_size: 88
    .language:       OpenCL C
    .language_version:
      - 2
      - 0
    .max_flat_workgroup_size: 1024
    .name:           _ZN7rocprim17ROCPRIM_400000_NS6detail17trampoline_kernelINS0_14default_configENS1_21merge_config_selectorIiNS0_10empty_typeEEEZNS1_10merge_implIS3_N6thrust23THRUST_200600_302600_NS6detail15normal_iteratorINS9_10device_ptrIKiEEEESF_NSB_INSC_IiEEEEPS5_SI_SI_NS9_4lessIiEEEE10hipError_tPvRmT0_T1_T2_T3_T4_T5_mmT6_P12ihipStream_tbEUlT_E0_NS1_11comp_targetILNS1_3genE10ELNS1_11target_archE1201ELNS1_3gpuE5ELNS1_3repE0EEENS1_30default_config_static_selectorELNS0_4arch9wavefront6targetE1EEEvSP_
    .private_segment_fixed_size: 0
    .sgpr_count:     4
    .sgpr_spill_count: 0
    .symbol:         _ZN7rocprim17ROCPRIM_400000_NS6detail17trampoline_kernelINS0_14default_configENS1_21merge_config_selectorIiNS0_10empty_typeEEEZNS1_10merge_implIS3_N6thrust23THRUST_200600_302600_NS6detail15normal_iteratorINS9_10device_ptrIKiEEEESF_NSB_INSC_IiEEEEPS5_SI_SI_NS9_4lessIiEEEE10hipError_tPvRmT0_T1_T2_T3_T4_T5_mmT6_P12ihipStream_tbEUlT_E0_NS1_11comp_targetILNS1_3genE10ELNS1_11target_archE1201ELNS1_3gpuE5ELNS1_3repE0EEENS1_30default_config_static_selectorELNS0_4arch9wavefront6targetE1EEEvSP_.kd
    .uniform_work_group_size: 1
    .uses_dynamic_stack: false
    .vgpr_count:     0
    .vgpr_spill_count: 0
    .wavefront_size: 64
  - .agpr_count:     0
    .args:
      - .offset:         0
        .size:           88
        .value_kind:     by_value
    .group_segment_fixed_size: 0
    .kernarg_segment_align: 8
    .kernarg_segment_size: 88
    .language:       OpenCL C
    .language_version:
      - 2
      - 0
    .max_flat_workgroup_size: 1024
    .name:           _ZN7rocprim17ROCPRIM_400000_NS6detail17trampoline_kernelINS0_14default_configENS1_21merge_config_selectorIiNS0_10empty_typeEEEZNS1_10merge_implIS3_N6thrust23THRUST_200600_302600_NS6detail15normal_iteratorINS9_10device_ptrIKiEEEESF_NSB_INSC_IiEEEEPS5_SI_SI_NS9_4lessIiEEEE10hipError_tPvRmT0_T1_T2_T3_T4_T5_mmT6_P12ihipStream_tbEUlT_E0_NS1_11comp_targetILNS1_3genE10ELNS1_11target_archE1200ELNS1_3gpuE4ELNS1_3repE0EEENS1_30default_config_static_selectorELNS0_4arch9wavefront6targetE1EEEvSP_
    .private_segment_fixed_size: 0
    .sgpr_count:     4
    .sgpr_spill_count: 0
    .symbol:         _ZN7rocprim17ROCPRIM_400000_NS6detail17trampoline_kernelINS0_14default_configENS1_21merge_config_selectorIiNS0_10empty_typeEEEZNS1_10merge_implIS3_N6thrust23THRUST_200600_302600_NS6detail15normal_iteratorINS9_10device_ptrIKiEEEESF_NSB_INSC_IiEEEEPS5_SI_SI_NS9_4lessIiEEEE10hipError_tPvRmT0_T1_T2_T3_T4_T5_mmT6_P12ihipStream_tbEUlT_E0_NS1_11comp_targetILNS1_3genE10ELNS1_11target_archE1200ELNS1_3gpuE4ELNS1_3repE0EEENS1_30default_config_static_selectorELNS0_4arch9wavefront6targetE1EEEvSP_.kd
    .uniform_work_group_size: 1
    .uses_dynamic_stack: false
    .vgpr_count:     0
    .vgpr_spill_count: 0
    .wavefront_size: 64
  - .agpr_count:     0
    .args:
      - .offset:         0
        .size:           88
        .value_kind:     by_value
    .group_segment_fixed_size: 0
    .kernarg_segment_align: 8
    .kernarg_segment_size: 88
    .language:       OpenCL C
    .language_version:
      - 2
      - 0
    .max_flat_workgroup_size: 1024
    .name:           _ZN7rocprim17ROCPRIM_400000_NS6detail17trampoline_kernelINS0_14default_configENS1_21merge_config_selectorIiNS0_10empty_typeEEEZNS1_10merge_implIS3_N6thrust23THRUST_200600_302600_NS6detail15normal_iteratorINS9_10device_ptrIKiEEEESF_NSB_INSC_IiEEEEPS5_SI_SI_NS9_4lessIiEEEE10hipError_tPvRmT0_T1_T2_T3_T4_T5_mmT6_P12ihipStream_tbEUlT_E0_NS1_11comp_targetILNS1_3genE9ELNS1_11target_archE1100ELNS1_3gpuE3ELNS1_3repE0EEENS1_30default_config_static_selectorELNS0_4arch9wavefront6targetE1EEEvSP_
    .private_segment_fixed_size: 0
    .sgpr_count:     4
    .sgpr_spill_count: 0
    .symbol:         _ZN7rocprim17ROCPRIM_400000_NS6detail17trampoline_kernelINS0_14default_configENS1_21merge_config_selectorIiNS0_10empty_typeEEEZNS1_10merge_implIS3_N6thrust23THRUST_200600_302600_NS6detail15normal_iteratorINS9_10device_ptrIKiEEEESF_NSB_INSC_IiEEEEPS5_SI_SI_NS9_4lessIiEEEE10hipError_tPvRmT0_T1_T2_T3_T4_T5_mmT6_P12ihipStream_tbEUlT_E0_NS1_11comp_targetILNS1_3genE9ELNS1_11target_archE1100ELNS1_3gpuE3ELNS1_3repE0EEENS1_30default_config_static_selectorELNS0_4arch9wavefront6targetE1EEEvSP_.kd
    .uniform_work_group_size: 1
    .uses_dynamic_stack: false
    .vgpr_count:     0
    .vgpr_spill_count: 0
    .wavefront_size: 64
  - .agpr_count:     0
    .args:
      - .offset:         0
        .size:           88
        .value_kind:     by_value
    .group_segment_fixed_size: 0
    .kernarg_segment_align: 8
    .kernarg_segment_size: 88
    .language:       OpenCL C
    .language_version:
      - 2
      - 0
    .max_flat_workgroup_size: 1024
    .name:           _ZN7rocprim17ROCPRIM_400000_NS6detail17trampoline_kernelINS0_14default_configENS1_21merge_config_selectorIiNS0_10empty_typeEEEZNS1_10merge_implIS3_N6thrust23THRUST_200600_302600_NS6detail15normal_iteratorINS9_10device_ptrIKiEEEESF_NSB_INSC_IiEEEEPS5_SI_SI_NS9_4lessIiEEEE10hipError_tPvRmT0_T1_T2_T3_T4_T5_mmT6_P12ihipStream_tbEUlT_E0_NS1_11comp_targetILNS1_3genE8ELNS1_11target_archE1030ELNS1_3gpuE2ELNS1_3repE0EEENS1_30default_config_static_selectorELNS0_4arch9wavefront6targetE1EEEvSP_
    .private_segment_fixed_size: 0
    .sgpr_count:     4
    .sgpr_spill_count: 0
    .symbol:         _ZN7rocprim17ROCPRIM_400000_NS6detail17trampoline_kernelINS0_14default_configENS1_21merge_config_selectorIiNS0_10empty_typeEEEZNS1_10merge_implIS3_N6thrust23THRUST_200600_302600_NS6detail15normal_iteratorINS9_10device_ptrIKiEEEESF_NSB_INSC_IiEEEEPS5_SI_SI_NS9_4lessIiEEEE10hipError_tPvRmT0_T1_T2_T3_T4_T5_mmT6_P12ihipStream_tbEUlT_E0_NS1_11comp_targetILNS1_3genE8ELNS1_11target_archE1030ELNS1_3gpuE2ELNS1_3repE0EEENS1_30default_config_static_selectorELNS0_4arch9wavefront6targetE1EEEvSP_.kd
    .uniform_work_group_size: 1
    .uses_dynamic_stack: false
    .vgpr_count:     0
    .vgpr_spill_count: 0
    .wavefront_size: 64
  - .agpr_count:     0
    .args:
      - .address_space:  global
        .offset:         0
        .size:           8
        .value_kind:     global_buffer
      - .offset:         8
        .size:           4
        .value_kind:     by_value
      - .address_space:  global
        .offset:         16
        .size:           8
        .value_kind:     global_buffer
      - .offset:         24
        .size:           4
        .value_kind:     by_value
      - .address_space:  global
        .offset:         32
        .size:           8
        .value_kind:     global_buffer
      - .offset:         40
        .size:           4
        .value_kind:     hidden_block_count_x
      - .offset:         44
        .size:           4
        .value_kind:     hidden_block_count_y
      - .offset:         48
        .size:           4
        .value_kind:     hidden_block_count_z
      - .offset:         52
        .size:           2
        .value_kind:     hidden_group_size_x
      - .offset:         54
        .size:           2
        .value_kind:     hidden_group_size_y
      - .offset:         56
        .size:           2
        .value_kind:     hidden_group_size_z
      - .offset:         58
        .size:           2
        .value_kind:     hidden_remainder_x
      - .offset:         60
        .size:           2
        .value_kind:     hidden_remainder_y
      - .offset:         62
        .size:           2
        .value_kind:     hidden_remainder_z
      - .offset:         80
        .size:           8
        .value_kind:     hidden_global_offset_x
      - .offset:         88
        .size:           8
        .value_kind:     hidden_global_offset_y
      - .offset:         96
        .size:           8
        .value_kind:     hidden_global_offset_z
      - .offset:         104
        .size:           2
        .value_kind:     hidden_grid_dims
    .group_segment_fixed_size: 0
    .kernarg_segment_align: 8
    .kernarg_segment_size: 296
    .language:       OpenCL C
    .language_version:
      - 2
      - 0
    .max_flat_workgroup_size: 256
    .name:           _ZN7rocprim17ROCPRIM_400000_NS6detail31init_lookback_scan_state_kernelINS1_19lookback_scan_stateIlLb0ELb1EEENS1_16ordered_block_idIjEEEEvT_jT0_jPNS7_10value_typeE
    .private_segment_fixed_size: 0
    .sgpr_count:     19
    .sgpr_spill_count: 0
    .symbol:         _ZN7rocprim17ROCPRIM_400000_NS6detail31init_lookback_scan_state_kernelINS1_19lookback_scan_stateIlLb0ELb1EEENS1_16ordered_block_idIjEEEEvT_jT0_jPNS7_10value_typeE.kd
    .uniform_work_group_size: 1
    .uses_dynamic_stack: false
    .vgpr_count:     10
    .vgpr_spill_count: 0
    .wavefront_size: 64
  - .agpr_count:     0
    .args:
      - .offset:         0
        .size:           48
        .value_kind:     by_value
      - .offset:         48
        .size:           4
        .value_kind:     by_value
      - .offset:         52
        .size:           4
        .value_kind:     by_value
    .group_segment_fixed_size: 0
    .kernarg_segment_align: 8
    .kernarg_segment_size: 56
    .language:       OpenCL C
    .language_version:
      - 2
      - 0
    .max_flat_workgroup_size: 256
    .name:           _ZN6thrust23THRUST_200600_302600_NS11hip_rocprim14__parallel_for6kernelILj256EZNS1_16__set_operations9doit_stepILb0ENS0_6detail15normal_iteratorINS0_10device_ptrIKiEEEESB_PiSC_lNS7_INS8_IiEEEESC_NS0_4lessIiEENS4_16serial_set_unionEEE10hipError_tPvRmT0_T1_T2_T3_T4_SP_T5_T6_PSP_T7_T8_P12ihipStream_tbEUllE_jLj1EEEvSL_SM_SM_
    .private_segment_fixed_size: 0
    .sgpr_count:     26
    .sgpr_spill_count: 0
    .symbol:         _ZN6thrust23THRUST_200600_302600_NS11hip_rocprim14__parallel_for6kernelILj256EZNS1_16__set_operations9doit_stepILb0ENS0_6detail15normal_iteratorINS0_10device_ptrIKiEEEESB_PiSC_lNS7_INS8_IiEEEESC_NS0_4lessIiEENS4_16serial_set_unionEEE10hipError_tPvRmT0_T1_T2_T3_T4_SP_T5_T6_PSP_T7_T8_P12ihipStream_tbEUllE_jLj1EEEvSL_SM_SM_.kd
    .uniform_work_group_size: 1
    .uses_dynamic_stack: false
    .vgpr_count:     25
    .vgpr_spill_count: 0
    .wavefront_size: 64
  - .agpr_count:     0
    .args:
      - .address_space:  global
        .offset:         0
        .size:           8
        .value_kind:     global_buffer
      - .address_space:  global
        .offset:         8
        .size:           8
        .value_kind:     global_buffer
      - .address_space:  global
        .offset:         16
        .size:           8
        .value_kind:     global_buffer
      - .address_space:  global
        .offset:         24
        .size:           8
        .value_kind:     global_buffer
      - .address_space:  global
        .offset:         32
        .size:           8
        .value_kind:     global_buffer
      - .address_space:  global
        .offset:         40
        .size:           8
        .value_kind:     global_buffer
      - .offset:         48
        .size:           1
        .value_kind:     by_value
      - .offset:         49
        .size:           1
        .value_kind:     by_value
      - .address_space:  global
        .offset:         56
        .size:           8
        .value_kind:     global_buffer
      - .address_space:  global
        .offset:         64
        .size:           8
        .value_kind:     global_buffer
      - .address_space:  global
        .offset:         72
        .size:           8
        .value_kind:     global_buffer
      - .address_space:  global
        .offset:         80
        .size:           8
        .value_kind:     global_buffer
      - .offset:         88
        .size:           4
        .value_kind:     hidden_block_count_x
      - .offset:         92
        .size:           4
        .value_kind:     hidden_block_count_y
      - .offset:         96
        .size:           4
        .value_kind:     hidden_block_count_z
      - .offset:         100
        .size:           2
        .value_kind:     hidden_group_size_x
      - .offset:         102
        .size:           2
        .value_kind:     hidden_group_size_y
      - .offset:         104
        .size:           2
        .value_kind:     hidden_group_size_z
      - .offset:         106
        .size:           2
        .value_kind:     hidden_remainder_x
      - .offset:         108
        .size:           2
        .value_kind:     hidden_remainder_y
      - .offset:         110
        .size:           2
        .value_kind:     hidden_remainder_z
      - .offset:         128
        .size:           8
        .value_kind:     hidden_global_offset_x
      - .offset:         136
        .size:           8
        .value_kind:     hidden_global_offset_y
      - .offset:         144
        .size:           8
        .value_kind:     hidden_global_offset_z
      - .offset:         152
        .size:           2
        .value_kind:     hidden_grid_dims
    .group_segment_fixed_size: 36868
    .kernarg_segment_align: 8
    .kernarg_segment_size: 344
    .language:       OpenCL C
    .language_version:
      - 2
      - 0
    .max_flat_workgroup_size: 256
    .name:           _ZN6thrust23THRUST_200600_302600_NS11hip_rocprim16__set_operations22lookback_set_op_kernelIN7rocprim17ROCPRIM_400000_NS13kernel_configILj256ELj16ELj4294967295EEELb0ENS0_6detail15normal_iteratorINS0_10device_ptrIKiEEEESD_PiSE_lNS9_INSA_IiEEEESE_NS0_4lessIiEENS2_16serial_set_unionENS5_6detail19lookback_scan_stateIlLb0ELb1EEEEEvT1_T2_T3_T4_T6_T7_T8_T9_PNS0_4pairIT5_SW_EEPSW_T10_NSK_16ordered_block_idIjEE
    .private_segment_fixed_size: 0
    .sgpr_count:     68
    .sgpr_spill_count: 0
    .symbol:         _ZN6thrust23THRUST_200600_302600_NS11hip_rocprim16__set_operations22lookback_set_op_kernelIN7rocprim17ROCPRIM_400000_NS13kernel_configILj256ELj16ELj4294967295EEELb0ENS0_6detail15normal_iteratorINS0_10device_ptrIKiEEEESD_PiSE_lNS9_INSA_IiEEEESE_NS0_4lessIiEENS2_16serial_set_unionENS5_6detail19lookback_scan_stateIlLb0ELb1EEEEEvT1_T2_T3_T4_T6_T7_T8_T9_PNS0_4pairIT5_SW_EEPSW_T10_NSK_16ordered_block_idIjEE.kd
    .uniform_work_group_size: 1
    .uses_dynamic_stack: false
    .vgpr_count:     85
    .vgpr_spill_count: 0
    .wavefront_size: 64
  - .agpr_count:     0
    .args:
      - .offset:         0
        .size:           48
        .value_kind:     by_value
      - .offset:         48
        .size:           4
        .value_kind:     by_value
      - .offset:         52
        .size:           4
        .value_kind:     by_value
    .group_segment_fixed_size: 0
    .kernarg_segment_align: 8
    .kernarg_segment_size: 56
    .language:       OpenCL C
    .language_version:
      - 2
      - 0
    .max_flat_workgroup_size: 256
    .name:           _ZN6thrust23THRUST_200600_302600_NS11hip_rocprim14__parallel_for6kernelILj256EZNS1_16__set_operations9doit_stepILb0ENS0_6detail15normal_iteratorINS0_10device_ptrIKiEEEESB_PiSC_lNS7_INS8_IiEEEESC_NS0_4lessIiEENS4_23serial_set_intersectionEEE10hipError_tPvRmT0_T1_T2_T3_T4_SP_T5_T6_PSP_T7_T8_P12ihipStream_tbEUllE_jLj1EEEvSL_SM_SM_
    .private_segment_fixed_size: 0
    .sgpr_count:     26
    .sgpr_spill_count: 0
    .symbol:         _ZN6thrust23THRUST_200600_302600_NS11hip_rocprim14__parallel_for6kernelILj256EZNS1_16__set_operations9doit_stepILb0ENS0_6detail15normal_iteratorINS0_10device_ptrIKiEEEESB_PiSC_lNS7_INS8_IiEEEESC_NS0_4lessIiEENS4_23serial_set_intersectionEEE10hipError_tPvRmT0_T1_T2_T3_T4_SP_T5_T6_PSP_T7_T8_P12ihipStream_tbEUllE_jLj1EEEvSL_SM_SM_.kd
    .uniform_work_group_size: 1
    .uses_dynamic_stack: false
    .vgpr_count:     25
    .vgpr_spill_count: 0
    .wavefront_size: 64
  - .agpr_count:     0
    .args:
      - .address_space:  global
        .offset:         0
        .size:           8
        .value_kind:     global_buffer
      - .address_space:  global
        .offset:         8
        .size:           8
        .value_kind:     global_buffer
      - .address_space:  global
        .offset:         16
        .size:           8
        .value_kind:     global_buffer
      - .address_space:  global
        .offset:         24
        .size:           8
        .value_kind:     global_buffer
      - .address_space:  global
        .offset:         32
        .size:           8
        .value_kind:     global_buffer
      - .address_space:  global
        .offset:         40
        .size:           8
        .value_kind:     global_buffer
      - .offset:         48
        .size:           1
        .value_kind:     by_value
      - .offset:         49
        .size:           1
        .value_kind:     by_value
      - .address_space:  global
        .offset:         56
        .size:           8
        .value_kind:     global_buffer
      - .address_space:  global
        .offset:         64
        .size:           8
        .value_kind:     global_buffer
      - .address_space:  global
        .offset:         72
        .size:           8
        .value_kind:     global_buffer
      - .address_space:  global
        .offset:         80
        .size:           8
        .value_kind:     global_buffer
      - .offset:         88
        .size:           4
        .value_kind:     hidden_block_count_x
      - .offset:         92
        .size:           4
        .value_kind:     hidden_block_count_y
      - .offset:         96
        .size:           4
        .value_kind:     hidden_block_count_z
      - .offset:         100
        .size:           2
        .value_kind:     hidden_group_size_x
      - .offset:         102
        .size:           2
        .value_kind:     hidden_group_size_y
      - .offset:         104
        .size:           2
        .value_kind:     hidden_group_size_z
      - .offset:         106
        .size:           2
        .value_kind:     hidden_remainder_x
      - .offset:         108
        .size:           2
        .value_kind:     hidden_remainder_y
      - .offset:         110
        .size:           2
        .value_kind:     hidden_remainder_z
      - .offset:         128
        .size:           8
        .value_kind:     hidden_global_offset_x
      - .offset:         136
        .size:           8
        .value_kind:     hidden_global_offset_y
      - .offset:         144
        .size:           8
        .value_kind:     hidden_global_offset_z
      - .offset:         152
        .size:           2
        .value_kind:     hidden_grid_dims
    .group_segment_fixed_size: 36868
    .kernarg_segment_align: 8
    .kernarg_segment_size: 344
    .language:       OpenCL C
    .language_version:
      - 2
      - 0
    .max_flat_workgroup_size: 256
    .name:           _ZN6thrust23THRUST_200600_302600_NS11hip_rocprim16__set_operations22lookback_set_op_kernelIN7rocprim17ROCPRIM_400000_NS13kernel_configILj256ELj16ELj4294967295EEELb0ENS0_6detail15normal_iteratorINS0_10device_ptrIKiEEEESD_PiSE_lNS9_INSA_IiEEEESE_NS0_4lessIiEENS2_23serial_set_intersectionENS5_6detail19lookback_scan_stateIlLb0ELb1EEEEEvT1_T2_T3_T4_T6_T7_T8_T9_PNS0_4pairIT5_SW_EEPSW_T10_NSK_16ordered_block_idIjEE
    .private_segment_fixed_size: 0
    .sgpr_count:     36
    .sgpr_spill_count: 0
    .symbol:         _ZN6thrust23THRUST_200600_302600_NS11hip_rocprim16__set_operations22lookback_set_op_kernelIN7rocprim17ROCPRIM_400000_NS13kernel_configILj256ELj16ELj4294967295EEELb0ENS0_6detail15normal_iteratorINS0_10device_ptrIKiEEEESD_PiSE_lNS9_INSA_IiEEEESE_NS0_4lessIiEENS2_23serial_set_intersectionENS5_6detail19lookback_scan_stateIlLb0ELb1EEEEEvT1_T2_T3_T4_T6_T7_T8_T9_PNS0_4pairIT5_SW_EEPSW_T10_NSK_16ordered_block_idIjEE.kd
    .uniform_work_group_size: 1
    .uses_dynamic_stack: false
    .vgpr_count:     74
    .vgpr_spill_count: 0
    .wavefront_size: 64
  - .agpr_count:     0
    .args:
      - .offset:         0
        .size:           48
        .value_kind:     by_value
      - .offset:         48
        .size:           4
        .value_kind:     by_value
      - .offset:         52
        .size:           4
        .value_kind:     by_value
    .group_segment_fixed_size: 0
    .kernarg_segment_align: 8
    .kernarg_segment_size: 56
    .language:       OpenCL C
    .language_version:
      - 2
      - 0
    .max_flat_workgroup_size: 256
    .name:           _ZN6thrust23THRUST_200600_302600_NS11hip_rocprim14__parallel_for6kernelILj256EZNS1_16__set_operations9doit_stepILb0ENS0_6detail15normal_iteratorINS0_10device_ptrIKiEEEESB_PiSC_lNS7_INS8_IiEEEESC_NS0_4lessIiEENS4_21serial_set_differenceEEE10hipError_tPvRmT0_T1_T2_T3_T4_SP_T5_T6_PSP_T7_T8_P12ihipStream_tbEUllE_jLj1EEEvSL_SM_SM_
    .private_segment_fixed_size: 0
    .sgpr_count:     26
    .sgpr_spill_count: 0
    .symbol:         _ZN6thrust23THRUST_200600_302600_NS11hip_rocprim14__parallel_for6kernelILj256EZNS1_16__set_operations9doit_stepILb0ENS0_6detail15normal_iteratorINS0_10device_ptrIKiEEEESB_PiSC_lNS7_INS8_IiEEEESC_NS0_4lessIiEENS4_21serial_set_differenceEEE10hipError_tPvRmT0_T1_T2_T3_T4_SP_T5_T6_PSP_T7_T8_P12ihipStream_tbEUllE_jLj1EEEvSL_SM_SM_.kd
    .uniform_work_group_size: 1
    .uses_dynamic_stack: false
    .vgpr_count:     25
    .vgpr_spill_count: 0
    .wavefront_size: 64
  - .agpr_count:     0
    .args:
      - .address_space:  global
        .offset:         0
        .size:           8
        .value_kind:     global_buffer
      - .address_space:  global
        .offset:         8
        .size:           8
        .value_kind:     global_buffer
      - .address_space:  global
        .offset:         16
        .size:           8
        .value_kind:     global_buffer
      - .address_space:  global
        .offset:         24
        .size:           8
        .value_kind:     global_buffer
      - .address_space:  global
        .offset:         32
        .size:           8
        .value_kind:     global_buffer
      - .address_space:  global
        .offset:         40
        .size:           8
        .value_kind:     global_buffer
      - .offset:         48
        .size:           1
        .value_kind:     by_value
      - .offset:         49
        .size:           1
        .value_kind:     by_value
      - .address_space:  global
        .offset:         56
        .size:           8
        .value_kind:     global_buffer
      - .address_space:  global
        .offset:         64
        .size:           8
        .value_kind:     global_buffer
      - .address_space:  global
        .offset:         72
        .size:           8
        .value_kind:     global_buffer
      - .address_space:  global
        .offset:         80
        .size:           8
        .value_kind:     global_buffer
      - .offset:         88
        .size:           4
        .value_kind:     hidden_block_count_x
      - .offset:         92
        .size:           4
        .value_kind:     hidden_block_count_y
      - .offset:         96
        .size:           4
        .value_kind:     hidden_block_count_z
      - .offset:         100
        .size:           2
        .value_kind:     hidden_group_size_x
      - .offset:         102
        .size:           2
        .value_kind:     hidden_group_size_y
      - .offset:         104
        .size:           2
        .value_kind:     hidden_group_size_z
      - .offset:         106
        .size:           2
        .value_kind:     hidden_remainder_x
      - .offset:         108
        .size:           2
        .value_kind:     hidden_remainder_y
      - .offset:         110
        .size:           2
        .value_kind:     hidden_remainder_z
      - .offset:         128
        .size:           8
        .value_kind:     hidden_global_offset_x
      - .offset:         136
        .size:           8
        .value_kind:     hidden_global_offset_y
      - .offset:         144
        .size:           8
        .value_kind:     hidden_global_offset_z
      - .offset:         152
        .size:           2
        .value_kind:     hidden_grid_dims
    .group_segment_fixed_size: 36868
    .kernarg_segment_align: 8
    .kernarg_segment_size: 344
    .language:       OpenCL C
    .language_version:
      - 2
      - 0
    .max_flat_workgroup_size: 256
    .name:           _ZN6thrust23THRUST_200600_302600_NS11hip_rocprim16__set_operations22lookback_set_op_kernelIN7rocprim17ROCPRIM_400000_NS13kernel_configILj256ELj16ELj4294967295EEELb0ENS0_6detail15normal_iteratorINS0_10device_ptrIKiEEEESD_PiSE_lNS9_INSA_IiEEEESE_NS0_4lessIiEENS2_21serial_set_differenceENS5_6detail19lookback_scan_stateIlLb0ELb1EEEEEvT1_T2_T3_T4_T6_T7_T8_T9_PNS0_4pairIT5_SW_EEPSW_T10_NSK_16ordered_block_idIjEE
    .private_segment_fixed_size: 0
    .sgpr_count:     50
    .sgpr_spill_count: 0
    .symbol:         _ZN6thrust23THRUST_200600_302600_NS11hip_rocprim16__set_operations22lookback_set_op_kernelIN7rocprim17ROCPRIM_400000_NS13kernel_configILj256ELj16ELj4294967295EEELb0ENS0_6detail15normal_iteratorINS0_10device_ptrIKiEEEESD_PiSE_lNS9_INSA_IiEEEESE_NS0_4lessIiEENS2_21serial_set_differenceENS5_6detail19lookback_scan_stateIlLb0ELb1EEEEEvT1_T2_T3_T4_T6_T7_T8_T9_PNS0_4pairIT5_SW_EEPSW_T10_NSK_16ordered_block_idIjEE.kd
    .uniform_work_group_size: 1
    .uses_dynamic_stack: false
    .vgpr_count:     65
    .vgpr_spill_count: 0
    .wavefront_size: 64
  - .agpr_count:     0
    .args:
      - .offset:         0
        .size:           48
        .value_kind:     by_value
      - .offset:         48
        .size:           4
        .value_kind:     by_value
      - .offset:         52
        .size:           4
        .value_kind:     by_value
    .group_segment_fixed_size: 0
    .kernarg_segment_align: 8
    .kernarg_segment_size: 56
    .language:       OpenCL C
    .language_version:
      - 2
      - 0
    .max_flat_workgroup_size: 256
    .name:           _ZN6thrust23THRUST_200600_302600_NS11hip_rocprim14__parallel_for6kernelILj256EZNS1_16__set_operations9doit_stepILb0ENS0_6detail15normal_iteratorINS0_10device_ptrIKiEEEESB_PiSC_lNS7_INS8_IiEEEESC_NS0_4lessIiEENS4_31serial_set_symmetric_differenceEEE10hipError_tPvRmT0_T1_T2_T3_T4_SP_T5_T6_PSP_T7_T8_P12ihipStream_tbEUllE_jLj1EEEvSL_SM_SM_
    .private_segment_fixed_size: 0
    .sgpr_count:     26
    .sgpr_spill_count: 0
    .symbol:         _ZN6thrust23THRUST_200600_302600_NS11hip_rocprim14__parallel_for6kernelILj256EZNS1_16__set_operations9doit_stepILb0ENS0_6detail15normal_iteratorINS0_10device_ptrIKiEEEESB_PiSC_lNS7_INS8_IiEEEESC_NS0_4lessIiEENS4_31serial_set_symmetric_differenceEEE10hipError_tPvRmT0_T1_T2_T3_T4_SP_T5_T6_PSP_T7_T8_P12ihipStream_tbEUllE_jLj1EEEvSL_SM_SM_.kd
    .uniform_work_group_size: 1
    .uses_dynamic_stack: false
    .vgpr_count:     25
    .vgpr_spill_count: 0
    .wavefront_size: 64
  - .agpr_count:     0
    .args:
      - .address_space:  global
        .offset:         0
        .size:           8
        .value_kind:     global_buffer
      - .address_space:  global
        .offset:         8
        .size:           8
        .value_kind:     global_buffer
      - .address_space:  global
        .offset:         16
        .size:           8
        .value_kind:     global_buffer
      - .address_space:  global
        .offset:         24
        .size:           8
        .value_kind:     global_buffer
      - .address_space:  global
        .offset:         32
        .size:           8
        .value_kind:     global_buffer
      - .address_space:  global
        .offset:         40
        .size:           8
        .value_kind:     global_buffer
      - .offset:         48
        .size:           1
        .value_kind:     by_value
      - .offset:         49
        .size:           1
        .value_kind:     by_value
      - .address_space:  global
        .offset:         56
        .size:           8
        .value_kind:     global_buffer
      - .address_space:  global
        .offset:         64
        .size:           8
        .value_kind:     global_buffer
      - .address_space:  global
        .offset:         72
        .size:           8
        .value_kind:     global_buffer
      - .address_space:  global
        .offset:         80
        .size:           8
        .value_kind:     global_buffer
      - .offset:         88
        .size:           4
        .value_kind:     hidden_block_count_x
      - .offset:         92
        .size:           4
        .value_kind:     hidden_block_count_y
      - .offset:         96
        .size:           4
        .value_kind:     hidden_block_count_z
      - .offset:         100
        .size:           2
        .value_kind:     hidden_group_size_x
      - .offset:         102
        .size:           2
        .value_kind:     hidden_group_size_y
      - .offset:         104
        .size:           2
        .value_kind:     hidden_group_size_z
      - .offset:         106
        .size:           2
        .value_kind:     hidden_remainder_x
      - .offset:         108
        .size:           2
        .value_kind:     hidden_remainder_y
      - .offset:         110
        .size:           2
        .value_kind:     hidden_remainder_z
      - .offset:         128
        .size:           8
        .value_kind:     hidden_global_offset_x
      - .offset:         136
        .size:           8
        .value_kind:     hidden_global_offset_y
      - .offset:         144
        .size:           8
        .value_kind:     hidden_global_offset_z
      - .offset:         152
        .size:           2
        .value_kind:     hidden_grid_dims
    .group_segment_fixed_size: 36868
    .kernarg_segment_align: 8
    .kernarg_segment_size: 344
    .language:       OpenCL C
    .language_version:
      - 2
      - 0
    .max_flat_workgroup_size: 256
    .name:           _ZN6thrust23THRUST_200600_302600_NS11hip_rocprim16__set_operations22lookback_set_op_kernelIN7rocprim17ROCPRIM_400000_NS13kernel_configILj256ELj16ELj4294967295EEELb0ENS0_6detail15normal_iteratorINS0_10device_ptrIKiEEEESD_PiSE_lNS9_INSA_IiEEEESE_NS0_4lessIiEENS2_31serial_set_symmetric_differenceENS5_6detail19lookback_scan_stateIlLb0ELb1EEEEEvT1_T2_T3_T4_T6_T7_T8_T9_PNS0_4pairIT5_SW_EEPSW_T10_NSK_16ordered_block_idIjEE
    .private_segment_fixed_size: 0
    .sgpr_count:     84
    .sgpr_spill_count: 0
    .symbol:         _ZN6thrust23THRUST_200600_302600_NS11hip_rocprim16__set_operations22lookback_set_op_kernelIN7rocprim17ROCPRIM_400000_NS13kernel_configILj256ELj16ELj4294967295EEELb0ENS0_6detail15normal_iteratorINS0_10device_ptrIKiEEEESD_PiSE_lNS9_INSA_IiEEEESE_NS0_4lessIiEENS2_31serial_set_symmetric_differenceENS5_6detail19lookback_scan_stateIlLb0ELb1EEEEEvT1_T2_T3_T4_T6_T7_T8_T9_PNS0_4pairIT5_SW_EEPSW_T10_NSK_16ordered_block_idIjEE.kd
    .uniform_work_group_size: 1
    .uses_dynamic_stack: false
    .vgpr_count:     81
    .vgpr_spill_count: 0
    .wavefront_size: 64
  - .agpr_count:     0
    .args:
      - .offset:         0
        .size:           48
        .value_kind:     by_value
      - .offset:         48
        .size:           4
        .value_kind:     by_value
      - .offset:         52
        .size:           4
        .value_kind:     by_value
    .group_segment_fixed_size: 0
    .kernarg_segment_align: 8
    .kernarg_segment_size: 56
    .language:       OpenCL C
    .language_version:
      - 2
      - 0
    .max_flat_workgroup_size: 256
    .name:           _ZN6thrust23THRUST_200600_302600_NS11hip_rocprim14__parallel_for6kernelILj256EZNS1_16__set_operations9doit_stepILb0ENS0_6detail15normal_iteratorINS0_10device_ptrIKiEEEESB_PiSC_lNS0_16discard_iteratorINS0_11use_defaultEEESC_NS0_4lessIiEENS4_23serial_set_intersectionEEE10hipError_tPvRmT0_T1_T2_T3_T4_SQ_T5_T6_PSQ_T7_T8_P12ihipStream_tbEUllE_jLj1EEEvSM_SN_SN_
    .private_segment_fixed_size: 0
    .sgpr_count:     26
    .sgpr_spill_count: 0
    .symbol:         _ZN6thrust23THRUST_200600_302600_NS11hip_rocprim14__parallel_for6kernelILj256EZNS1_16__set_operations9doit_stepILb0ENS0_6detail15normal_iteratorINS0_10device_ptrIKiEEEESB_PiSC_lNS0_16discard_iteratorINS0_11use_defaultEEESC_NS0_4lessIiEENS4_23serial_set_intersectionEEE10hipError_tPvRmT0_T1_T2_T3_T4_SQ_T5_T6_PSQ_T7_T8_P12ihipStream_tbEUllE_jLj1EEEvSM_SN_SN_.kd
    .uniform_work_group_size: 1
    .uses_dynamic_stack: false
    .vgpr_count:     25
    .vgpr_spill_count: 0
    .wavefront_size: 64
  - .agpr_count:     0
    .args:
      - .address_space:  global
        .offset:         0
        .size:           8
        .value_kind:     global_buffer
      - .address_space:  global
        .offset:         8
        .size:           8
        .value_kind:     global_buffer
      - .address_space:  global
        .offset:         16
        .size:           8
        .value_kind:     global_buffer
      - .address_space:  global
        .offset:         24
        .size:           8
        .value_kind:     global_buffer
      - .offset:         32
        .size:           16
        .value_kind:     by_value
      - .address_space:  global
        .offset:         48
        .size:           8
        .value_kind:     global_buffer
      - .offset:         56
        .size:           1
        .value_kind:     by_value
      - .offset:         57
        .size:           1
        .value_kind:     by_value
      - .address_space:  global
        .offset:         64
        .size:           8
        .value_kind:     global_buffer
      - .address_space:  global
        .offset:         72
        .size:           8
        .value_kind:     global_buffer
      - .address_space:  global
        .offset:         80
        .size:           8
        .value_kind:     global_buffer
      - .address_space:  global
        .offset:         88
        .size:           8
        .value_kind:     global_buffer
      - .offset:         96
        .size:           4
        .value_kind:     hidden_block_count_x
      - .offset:         100
        .size:           4
        .value_kind:     hidden_block_count_y
      - .offset:         104
        .size:           4
        .value_kind:     hidden_block_count_z
      - .offset:         108
        .size:           2
        .value_kind:     hidden_group_size_x
      - .offset:         110
        .size:           2
        .value_kind:     hidden_group_size_y
      - .offset:         112
        .size:           2
        .value_kind:     hidden_group_size_z
      - .offset:         114
        .size:           2
        .value_kind:     hidden_remainder_x
      - .offset:         116
        .size:           2
        .value_kind:     hidden_remainder_y
      - .offset:         118
        .size:           2
        .value_kind:     hidden_remainder_z
      - .offset:         136
        .size:           8
        .value_kind:     hidden_global_offset_x
      - .offset:         144
        .size:           8
        .value_kind:     hidden_global_offset_y
      - .offset:         152
        .size:           8
        .value_kind:     hidden_global_offset_z
      - .offset:         160
        .size:           2
        .value_kind:     hidden_grid_dims
    .group_segment_fixed_size: 36868
    .kernarg_segment_align: 8
    .kernarg_segment_size: 352
    .language:       OpenCL C
    .language_version:
      - 2
      - 0
    .max_flat_workgroup_size: 256
    .name:           _ZN6thrust23THRUST_200600_302600_NS11hip_rocprim16__set_operations22lookback_set_op_kernelIN7rocprim17ROCPRIM_400000_NS13kernel_configILj256ELj16ELj4294967295EEELb0ENS0_6detail15normal_iteratorINS0_10device_ptrIKiEEEESD_PiSE_lNS0_16discard_iteratorINS0_11use_defaultEEESE_NS0_4lessIiEENS2_23serial_set_intersectionENS5_6detail19lookback_scan_stateIlLb0ELb1EEEEEvT1_T2_T3_T4_T6_T7_T8_T9_PNS0_4pairIT5_SX_EEPSX_T10_NSL_16ordered_block_idIjEE
    .private_segment_fixed_size: 0
    .sgpr_count:     34
    .sgpr_spill_count: 0
    .symbol:         _ZN6thrust23THRUST_200600_302600_NS11hip_rocprim16__set_operations22lookback_set_op_kernelIN7rocprim17ROCPRIM_400000_NS13kernel_configILj256ELj16ELj4294967295EEELb0ENS0_6detail15normal_iteratorINS0_10device_ptrIKiEEEESD_PiSE_lNS0_16discard_iteratorINS0_11use_defaultEEESE_NS0_4lessIiEENS2_23serial_set_intersectionENS5_6detail19lookback_scan_stateIlLb0ELb1EEEEEvT1_T2_T3_T4_T6_T7_T8_T9_PNS0_4pairIT5_SX_EEPSX_T10_NSL_16ordered_block_idIjEE.kd
    .uniform_work_group_size: 1
    .uses_dynamic_stack: false
    .vgpr_count:     73
    .vgpr_spill_count: 0
    .wavefront_size: 64
amdhsa.target:   amdgcn-amd-amdhsa--gfx90a
amdhsa.version:
  - 1
  - 2
...

	.end_amdgpu_metadata
